;; amdgpu-corpus repo=ROCm/rocFFT kind=compiled arch=gfx906 opt=O3
	.text
	.amdgcn_target "amdgcn-amd-amdhsa--gfx906"
	.amdhsa_code_object_version 6
	.protected	fft_rtc_fwd_len1960_factors_4_7_2_7_5_wgs_56_tpt_56_halfLds_sp_ip_CI_unitstride_sbrr_dirReg ; -- Begin function fft_rtc_fwd_len1960_factors_4_7_2_7_5_wgs_56_tpt_56_halfLds_sp_ip_CI_unitstride_sbrr_dirReg
	.globl	fft_rtc_fwd_len1960_factors_4_7_2_7_5_wgs_56_tpt_56_halfLds_sp_ip_CI_unitstride_sbrr_dirReg
	.p2align	8
	.type	fft_rtc_fwd_len1960_factors_4_7_2_7_5_wgs_56_tpt_56_halfLds_sp_ip_CI_unitstride_sbrr_dirReg,@function
fft_rtc_fwd_len1960_factors_4_7_2_7_5_wgs_56_tpt_56_halfLds_sp_ip_CI_unitstride_sbrr_dirReg: ; @fft_rtc_fwd_len1960_factors_4_7_2_7_5_wgs_56_tpt_56_halfLds_sp_ip_CI_unitstride_sbrr_dirReg
; %bb.0:
	s_load_dwordx2 s[12:13], s[4:5], 0x50
	s_load_dwordx4 s[8:11], s[4:5], 0x0
	s_load_dwordx2 s[2:3], s[4:5], 0x18
	v_mul_u32_u24_e32 v1, 0x493, v0
	v_add_u32_sdwa v5, s6, v1 dst_sel:DWORD dst_unused:UNUSED_PAD src0_sel:DWORD src1_sel:WORD_1
	v_mov_b32_e32 v3, 0
	s_waitcnt lgkmcnt(0)
	v_cmp_lt_u64_e64 s[0:1], s[10:11], 2
	v_mov_b32_e32 v1, 0
	v_mov_b32_e32 v6, v3
	s_and_b64 vcc, exec, s[0:1]
	v_mov_b32_e32 v2, 0
	s_cbranch_vccnz .LBB0_8
; %bb.1:
	s_load_dwordx2 s[0:1], s[4:5], 0x10
	s_add_u32 s6, s2, 8
	s_addc_u32 s7, s3, 0
	v_mov_b32_e32 v1, 0
	v_mov_b32_e32 v2, 0
	s_waitcnt lgkmcnt(0)
	s_add_u32 s14, s0, 8
	s_addc_u32 s15, s1, 0
	s_mov_b64 s[16:17], 1
.LBB0_2:                                ; =>This Inner Loop Header: Depth=1
	s_load_dwordx2 s[18:19], s[14:15], 0x0
                                        ; implicit-def: $vgpr7_vgpr8
	s_waitcnt lgkmcnt(0)
	v_or_b32_e32 v4, s19, v6
	v_cmp_ne_u64_e32 vcc, 0, v[3:4]
	s_and_saveexec_b64 s[0:1], vcc
	s_xor_b64 s[20:21], exec, s[0:1]
	s_cbranch_execz .LBB0_4
; %bb.3:                                ;   in Loop: Header=BB0_2 Depth=1
	v_cvt_f32_u32_e32 v4, s18
	v_cvt_f32_u32_e32 v7, s19
	s_sub_u32 s0, 0, s18
	s_subb_u32 s1, 0, s19
	v_mac_f32_e32 v4, 0x4f800000, v7
	v_rcp_f32_e32 v4, v4
	v_mul_f32_e32 v4, 0x5f7ffffc, v4
	v_mul_f32_e32 v7, 0x2f800000, v4
	v_trunc_f32_e32 v7, v7
	v_mac_f32_e32 v4, 0xcf800000, v7
	v_cvt_u32_f32_e32 v7, v7
	v_cvt_u32_f32_e32 v4, v4
	v_mul_lo_u32 v8, s0, v7
	v_mul_hi_u32 v9, s0, v4
	v_mul_lo_u32 v11, s1, v4
	v_mul_lo_u32 v10, s0, v4
	v_add_u32_e32 v8, v9, v8
	v_add_u32_e32 v8, v8, v11
	v_mul_hi_u32 v9, v4, v10
	v_mul_lo_u32 v11, v4, v8
	v_mul_hi_u32 v13, v4, v8
	v_mul_hi_u32 v12, v7, v10
	v_mul_lo_u32 v10, v7, v10
	v_mul_hi_u32 v14, v7, v8
	v_add_co_u32_e32 v9, vcc, v9, v11
	v_addc_co_u32_e32 v11, vcc, 0, v13, vcc
	v_mul_lo_u32 v8, v7, v8
	v_add_co_u32_e32 v9, vcc, v9, v10
	v_addc_co_u32_e32 v9, vcc, v11, v12, vcc
	v_addc_co_u32_e32 v10, vcc, 0, v14, vcc
	v_add_co_u32_e32 v8, vcc, v9, v8
	v_addc_co_u32_e32 v9, vcc, 0, v10, vcc
	v_add_co_u32_e32 v4, vcc, v4, v8
	v_addc_co_u32_e32 v7, vcc, v7, v9, vcc
	v_mul_lo_u32 v8, s0, v7
	v_mul_hi_u32 v9, s0, v4
	v_mul_lo_u32 v10, s1, v4
	v_mul_lo_u32 v11, s0, v4
	v_add_u32_e32 v8, v9, v8
	v_add_u32_e32 v8, v8, v10
	v_mul_lo_u32 v12, v4, v8
	v_mul_hi_u32 v13, v4, v11
	v_mul_hi_u32 v14, v4, v8
	;; [unrolled: 1-line block ×3, first 2 shown]
	v_mul_lo_u32 v11, v7, v11
	v_mul_hi_u32 v9, v7, v8
	v_add_co_u32_e32 v12, vcc, v13, v12
	v_addc_co_u32_e32 v13, vcc, 0, v14, vcc
	v_mul_lo_u32 v8, v7, v8
	v_add_co_u32_e32 v11, vcc, v12, v11
	v_addc_co_u32_e32 v10, vcc, v13, v10, vcc
	v_addc_co_u32_e32 v9, vcc, 0, v9, vcc
	v_add_co_u32_e32 v8, vcc, v10, v8
	v_addc_co_u32_e32 v9, vcc, 0, v9, vcc
	v_add_co_u32_e32 v4, vcc, v4, v8
	v_addc_co_u32_e32 v9, vcc, v7, v9, vcc
	v_mad_u64_u32 v[7:8], s[0:1], v5, v9, 0
	v_mul_hi_u32 v10, v5, v4
	v_add_co_u32_e32 v11, vcc, v10, v7
	v_addc_co_u32_e32 v12, vcc, 0, v8, vcc
	v_mad_u64_u32 v[7:8], s[0:1], v6, v4, 0
	v_mad_u64_u32 v[9:10], s[0:1], v6, v9, 0
	v_add_co_u32_e32 v4, vcc, v11, v7
	v_addc_co_u32_e32 v4, vcc, v12, v8, vcc
	v_addc_co_u32_e32 v7, vcc, 0, v10, vcc
	v_add_co_u32_e32 v4, vcc, v4, v9
	v_addc_co_u32_e32 v9, vcc, 0, v7, vcc
	v_mul_lo_u32 v10, s19, v4
	v_mul_lo_u32 v11, s18, v9
	v_mad_u64_u32 v[7:8], s[0:1], s18, v4, 0
	v_add3_u32 v8, v8, v11, v10
	v_sub_u32_e32 v10, v6, v8
	v_mov_b32_e32 v11, s19
	v_sub_co_u32_e32 v7, vcc, v5, v7
	v_subb_co_u32_e64 v10, s[0:1], v10, v11, vcc
	v_subrev_co_u32_e64 v11, s[0:1], s18, v7
	v_subbrev_co_u32_e64 v10, s[0:1], 0, v10, s[0:1]
	v_cmp_le_u32_e64 s[0:1], s19, v10
	v_cndmask_b32_e64 v12, 0, -1, s[0:1]
	v_cmp_le_u32_e64 s[0:1], s18, v11
	v_cndmask_b32_e64 v11, 0, -1, s[0:1]
	v_cmp_eq_u32_e64 s[0:1], s19, v10
	v_cndmask_b32_e64 v10, v12, v11, s[0:1]
	v_add_co_u32_e64 v11, s[0:1], 2, v4
	v_addc_co_u32_e64 v12, s[0:1], 0, v9, s[0:1]
	v_add_co_u32_e64 v13, s[0:1], 1, v4
	v_addc_co_u32_e64 v14, s[0:1], 0, v9, s[0:1]
	v_subb_co_u32_e32 v8, vcc, v6, v8, vcc
	v_cmp_ne_u32_e64 s[0:1], 0, v10
	v_cmp_le_u32_e32 vcc, s19, v8
	v_cndmask_b32_e64 v10, v14, v12, s[0:1]
	v_cndmask_b32_e64 v12, 0, -1, vcc
	v_cmp_le_u32_e32 vcc, s18, v7
	v_cndmask_b32_e64 v7, 0, -1, vcc
	v_cmp_eq_u32_e32 vcc, s19, v8
	v_cndmask_b32_e32 v7, v12, v7, vcc
	v_cmp_ne_u32_e32 vcc, 0, v7
	v_cndmask_b32_e64 v7, v13, v11, s[0:1]
	v_cndmask_b32_e32 v8, v9, v10, vcc
	v_cndmask_b32_e32 v7, v4, v7, vcc
.LBB0_4:                                ;   in Loop: Header=BB0_2 Depth=1
	s_andn2_saveexec_b64 s[0:1], s[20:21]
	s_cbranch_execz .LBB0_6
; %bb.5:                                ;   in Loop: Header=BB0_2 Depth=1
	v_cvt_f32_u32_e32 v4, s18
	s_sub_i32 s20, 0, s18
	v_rcp_iflag_f32_e32 v4, v4
	v_mul_f32_e32 v4, 0x4f7ffffe, v4
	v_cvt_u32_f32_e32 v4, v4
	v_mul_lo_u32 v7, s20, v4
	v_mul_hi_u32 v7, v4, v7
	v_add_u32_e32 v4, v4, v7
	v_mul_hi_u32 v4, v5, v4
	v_mul_lo_u32 v7, v4, s18
	v_add_u32_e32 v8, 1, v4
	v_sub_u32_e32 v7, v5, v7
	v_subrev_u32_e32 v9, s18, v7
	v_cmp_le_u32_e32 vcc, s18, v7
	v_cndmask_b32_e32 v7, v7, v9, vcc
	v_cndmask_b32_e32 v4, v4, v8, vcc
	v_add_u32_e32 v8, 1, v4
	v_cmp_le_u32_e32 vcc, s18, v7
	v_cndmask_b32_e32 v7, v4, v8, vcc
	v_mov_b32_e32 v8, v3
.LBB0_6:                                ;   in Loop: Header=BB0_2 Depth=1
	s_or_b64 exec, exec, s[0:1]
	v_mul_lo_u32 v4, v8, s18
	v_mul_lo_u32 v11, v7, s19
	v_mad_u64_u32 v[9:10], s[0:1], v7, s18, 0
	s_load_dwordx2 s[0:1], s[6:7], 0x0
	s_add_u32 s16, s16, 1
	v_add3_u32 v4, v10, v11, v4
	v_sub_co_u32_e32 v5, vcc, v5, v9
	v_subb_co_u32_e32 v4, vcc, v6, v4, vcc
	s_waitcnt lgkmcnt(0)
	v_mul_lo_u32 v4, s0, v4
	v_mul_lo_u32 v6, s1, v5
	v_mad_u64_u32 v[1:2], s[0:1], s0, v5, v[1:2]
	s_addc_u32 s17, s17, 0
	s_add_u32 s6, s6, 8
	v_add3_u32 v2, v6, v2, v4
	v_mov_b32_e32 v4, s10
	v_mov_b32_e32 v5, s11
	s_addc_u32 s7, s7, 0
	v_cmp_ge_u64_e32 vcc, s[16:17], v[4:5]
	s_add_u32 s14, s14, 8
	s_addc_u32 s15, s15, 0
	s_cbranch_vccnz .LBB0_9
; %bb.7:                                ;   in Loop: Header=BB0_2 Depth=1
	v_mov_b32_e32 v5, v7
	v_mov_b32_e32 v6, v8
	s_branch .LBB0_2
.LBB0_8:
	v_mov_b32_e32 v8, v6
	v_mov_b32_e32 v7, v5
.LBB0_9:
	s_lshl_b64 s[0:1], s[10:11], 3
	s_add_u32 s0, s2, s0
	s_addc_u32 s1, s3, s1
	s_load_dwordx2 s[2:3], s[0:1], 0x0
	s_load_dwordx2 s[6:7], s[4:5], 0x20
                                        ; implicit-def: $sgpr4
                                        ; implicit-def: $vgpr87
	s_waitcnt lgkmcnt(0)
	v_mad_u64_u32 v[1:2], s[0:1], s2, v7, v[1:2]
	s_mov_b32 s0, 0x4924925
	v_mul_lo_u32 v3, s2, v8
	v_mul_lo_u32 v4, s3, v7
	v_mul_hi_u32 v5, v0, s0
	v_cmp_gt_u64_e64 s[0:1], s[6:7], v[7:8]
	v_cmp_le_u64_e32 vcc, s[6:7], v[7:8]
	v_add3_u32 v2, v4, v2, v3
	v_mul_u32_u24_e32 v3, 56, v5
	v_sub_u32_e32 v0, v0, v3
	s_and_saveexec_b64 s[2:3], vcc
	s_xor_b64 s[2:3], exec, s[2:3]
; %bb.10:
	v_or_b32_e32 v87, 0x1c0, v0
	s_mov_b32 s4, 0
; %bb.11:
	s_or_saveexec_b64 s[2:3], s[2:3]
	v_lshlrev_b64 v[2:3], 3, v[1:2]
	v_mov_b32_e32 v8, s4
	v_mov_b32_e32 v7, s4
	;; [unrolled: 1-line block ×4, first 2 shown]
                                        ; implicit-def: $vgpr56
                                        ; implicit-def: $vgpr58
                                        ; implicit-def: $vgpr52
                                        ; implicit-def: $vgpr14
                                        ; implicit-def: $vgpr10
                                        ; implicit-def: $vgpr6
                                        ; implicit-def: $vgpr62
                                        ; implicit-def: $vgpr12
                                        ; implicit-def: $vgpr20
                                        ; implicit-def: $vgpr28
                                        ; implicit-def: $vgpr74
                                        ; implicit-def: $vgpr50
                                        ; implicit-def: $vgpr16
                                        ; implicit-def: $vgpr18
                                        ; implicit-def: $vgpr68
                                        ; implicit-def: $vgpr46
                                        ; implicit-def: $vgpr24
                                        ; implicit-def: $vgpr34
                                        ; implicit-def: $vgpr42
                                        ; implicit-def: $vgpr36
                                        ; implicit-def: $vgpr32
                                        ; implicit-def: $vgpr66
                                        ; implicit-def: $vgpr48
                                        ; implicit-def: $vgpr38
                                        ; implicit-def: $vgpr30
                                        ; implicit-def: $vgpr44
                                        ; implicit-def: $vgpr22
                                        ; implicit-def: $vgpr26
                                        ; implicit-def: $vgpr54
                                        ; implicit-def: $vgpr70
                                        ; implicit-def: $vgpr60
                                        ; implicit-def: $vgpr64
                                        ; implicit-def: $vgpr72
                                        ; implicit-def: $vgpr76
	s_xor_b64 exec, exec, s[2:3]
	s_cbranch_execz .LBB0_15
; %bb.12:
	v_mov_b32_e32 v1, 0
	v_mov_b32_e32 v4, s13
	v_add_co_u32_e32 v6, vcc, s12, v2
	v_addc_co_u32_e32 v7, vcc, v4, v3, vcc
	v_lshlrev_b64 v[4:5], 3, v[0:1]
	s_movk_i32 s4, 0x1ea
	v_add_co_u32_e32 v77, vcc, v6, v4
	v_addc_co_u32_e32 v78, vcc, v7, v5, vcc
	v_add_co_u32_e32 v7, vcc, 0x1000, v77
	v_addc_co_u32_e32 v8, vcc, 0, v78, vcc
	;; [unrolled: 2-line block ×4, first 2 shown]
	global_load_dwordx2 v[19:20], v[7:8], off offset:720
	global_load_dwordx2 v[15:16], v[7:8], off offset:1168
	;; [unrolled: 1-line block ×24, first 2 shown]
	global_load_dwordx2 v[55:56], v[77:78], off
	global_load_dwordx2 v[13:14], v[77:78], off offset:448
	global_load_dwordx2 v[11:12], v[77:78], off offset:896
	;; [unrolled: 1-line block ×5, first 2 shown]
                                        ; kill: killed $vgpr43 killed $vgpr44
                                        ; kill: killed $vgpr7 killed $vgpr8
                                        ; kill: killed $vgpr39 killed $vgpr40
	global_load_dwordx2 v[47:48], v[77:78], off offset:2688
	global_load_dwordx2 v[43:44], v[77:78], off offset:3136
	v_or_b32_e32 v87, 0x1c0, v0
	v_cmp_gt_u32_e32 vcc, s4, v87
	v_mov_b32_e32 v7, v1
	v_mov_b32_e32 v8, v1
	;; [unrolled: 1-line block ×3, first 2 shown]
                                        ; implicit-def: $vgpr69
                                        ; implicit-def: $vgpr53
	s_and_saveexec_b64 s[4:5], vcc
	s_cbranch_execz .LBB0_14
; %bb.13:
	v_add_co_u32_e32 v79, vcc, 0x1000, v77
	v_addc_co_u32_e32 v80, vcc, 0, v78, vcc
	v_add_co_u32_e32 v81, vcc, 0x2000, v77
	v_addc_co_u32_e32 v82, vcc, 0, v78, vcc
	;; [unrolled: 2-line block ×3, first 2 shown]
	global_load_dwordx2 v[7:8], v[77:78], off offset:3584
	global_load_dwordx2 v[39:40], v[79:80], off offset:3408
	;; [unrolled: 1-line block ×4, first 2 shown]
	s_waitcnt vmcnt(2)
	v_mov_b32_e32 v1, v39
.LBB0_14:
	s_or_b64 exec, exec, s[4:5]
.LBB0_15:
	s_or_b64 exec, exec, s[2:3]
	s_waitcnt vmcnt(7)
	v_sub_f32_e32 v4, v55, v51
	v_sub_f32_e32 v51, v57, v75
	v_fma_f32 v39, v55, 2.0, -v4
	v_sub_f32_e32 v55, v58, v76
	v_fma_f32 v57, v57, 2.0, -v51
	v_sub_f32_e32 v75, v39, v57
	v_sub_f32_e32 v76, v4, v55
	s_waitcnt vmcnt(6)
	v_sub_f32_e32 v57, v13, v5
	v_sub_f32_e32 v89, v9, v61
	v_fma_f32 v78, v4, 2.0, -v76
	v_fma_f32 v13, v13, 2.0, -v57
	v_sub_f32_e32 v93, v10, v62
	v_fma_f32 v4, v9, 2.0, -v89
	v_sub_f32_e32 v4, v13, v4
	v_sub_f32_e32 v5, v57, v93
	v_add_u32_e32 v111, 56, v0
	v_fma_f32 v61, v13, 2.0, -v4
	v_fma_f32 v62, v57, 2.0, -v5
	v_lshl_add_u32 v90, v111, 4, 0
	s_waitcnt vmcnt(5)
	v_sub_f32_e32 v9, v11, v27
	v_sub_f32_e32 v91, v19, v73
	ds_write2_b64 v90, v[61:62], v[4:5] offset1:1
	v_sub_f32_e32 v95, v20, v74
	v_fma_f32 v11, v11, 2.0, -v9
	v_fma_f32 v4, v19, 2.0, -v91
	v_sub_f32_e32 v4, v11, v4
	v_sub_f32_e32 v5, v9, v95
	v_add_u32_e32 v112, 0x70, v0
	v_fma_f32 v61, v11, 2.0, -v4
	v_fma_f32 v62, v9, 2.0, -v5
	v_lshl_add_u32 v94, v112, 4, 0
	v_sub_f32_e32 v92, v15, v67
	s_waitcnt vmcnt(4)
	v_sub_f32_e32 v9, v49, v17
	ds_write2_b64 v94, v[61:62], v[4:5] offset1:1
	v_sub_f32_e32 v96, v16, v68
	v_fma_f32 v11, v49, 2.0, -v9
	v_fma_f32 v4, v15, 2.0, -v92
	v_sub_f32_e32 v4, v11, v4
	v_sub_f32_e32 v5, v9, v96
	v_add_u32_e32 v113, 0xa8, v0
	v_fma_f32 v61, v11, 2.0, -v4
	v_fma_f32 v62, v9, 2.0, -v5
	v_lshl_add_u32 v27, v113, 4, 0
	v_sub_f32_e32 v49, v23, v71
	s_waitcnt vmcnt(3)
	v_sub_f32_e32 v9, v45, v33
	ds_write2_b64 v27, v[61:62], v[4:5] offset1:1
	v_sub_f32_e32 v97, v24, v72
	v_fma_f32 v11, v45, 2.0, -v9
	v_fma_f32 v4, v23, 2.0, -v49
	v_sub_f32_e32 v4, v11, v4
	v_sub_f32_e32 v5, v9, v97
	v_add_u32_e32 v110, 0xe0, v0
	v_fma_f32 v61, v11, 2.0, -v4
	v_fma_f32 v62, v9, 2.0, -v5
	v_lshl_add_u32 v23, v110, 4, 0
	v_sub_f32_e32 v45, v35, v65
	s_waitcnt vmcnt(2)
	v_sub_f32_e32 v9, v41, v31
	ds_write2_b64 v23, v[61:62], v[4:5] offset1:1
	v_sub_f32_e32 v98, v36, v66
	v_fma_f32 v11, v41, 2.0, -v9
	v_fma_f32 v4, v35, 2.0, -v45
	v_sub_f32_e32 v4, v11, v4
	v_sub_f32_e32 v5, v9, v98
	v_add_u32_e32 v114, 0x118, v0
	v_fma_f32 v61, v11, 2.0, -v4
	v_fma_f32 v62, v9, 2.0, -v5
	v_lshl_add_u32 v31, v114, 4, 0
	v_sub_f32_e32 v41, v37, v63
	s_waitcnt vmcnt(1)
	v_sub_f32_e32 v9, v47, v29
	ds_write2_b64 v31, v[61:62], v[4:5] offset1:1
	v_sub_f32_e32 v101, v38, v64
	v_fma_f32 v11, v47, 2.0, -v9
	v_fma_f32 v4, v37, 2.0, -v41
	v_sub_f32_e32 v4, v11, v4
	v_sub_f32_e32 v5, v9, v101
	v_add_u32_e32 v109, 0x150, v0
	v_fma_f32 v61, v11, 2.0, -v4
	v_fma_f32 v62, v9, 2.0, -v5
	v_lshl_add_u32 v29, v109, 4, 0
	v_sub_f32_e32 v47, v21, v59
	s_waitcnt vmcnt(0)
	v_sub_f32_e32 v9, v43, v25
	ds_write2_b64 v29, v[61:62], v[4:5] offset1:1
	v_sub_f32_e32 v99, v22, v60
	v_fma_f32 v11, v43, 2.0, -v9
	v_fma_f32 v4, v21, 2.0, -v47
	v_sub_f32_e32 v4, v11, v4
	v_sub_f32_e32 v5, v9, v99
	v_add_u32_e32 v88, 0x188, v0
	v_fma_f32 v59, v11, 2.0, -v4
	v_fma_f32 v60, v9, 2.0, -v5
	v_lshl_add_u32 v37, v88, 4, 0
	ds_write2_b64 v37, v[59:60], v[4:5] offset1:1
	v_sub_f32_e32 v35, v40, v70
	v_sub_f32_e32 v4, v7, v53
	v_fma_f32 v77, v39, 2.0, -v75
	v_lshl_add_u32 v39, v0, 4, 0
	v_sub_f32_e32 v43, v1, v69
	v_cmp_gt_u32_e32 vcc, 42, v0
	v_lshl_add_u32 v33, v87, 4, 0
	v_sub_f32_e32 v5, v4, v35
	ds_write2_b64 v39, v[77:78], v[75:76] offset1:1
	s_and_saveexec_b64 s[2:3], vcc
	s_cbranch_execz .LBB0_17
; %bb.16:
	v_fma_f32 v7, v7, 2.0, -v4
	v_fma_f32 v1, v1, 2.0, -v43
	;; [unrolled: 1-line block ×3, first 2 shown]
	v_sub_f32_e32 v4, v7, v1
	v_fma_f32 v59, v7, 2.0, -v4
	ds_write2_b64 v33, v[59:60], v[4:5] offset1:1
.LBB0_17:
	s_or_b64 exec, exec, s[2:3]
	v_sub_f32_e32 v1, v56, v52
	v_fma_f32 v4, v56, 2.0, -v1
	v_fma_f32 v7, v58, 2.0, -v55
	v_add_f32_e32 v103, v1, v51
	v_sub_f32_e32 v102, v4, v7
	v_fma_f32 v105, v1, 2.0, -v103
	v_lshl_add_u32 v1, v0, 2, 0
	v_fma_f32 v104, v4, 2.0, -v102
	s_waitcnt lgkmcnt(0)
	; wave barrier
	s_waitcnt lgkmcnt(0)
	v_add_u32_e32 v13, 0x200, v1
	v_add_u32_e32 v9, 0x800, v1
	;; [unrolled: 1-line block ×10, first 2 shown]
	ds_read_b32 v21, v1 offset:7616
	ds_read2_b32 v[57:58], v1 offset1:56
	ds_read2_b32 v[51:52], v13 offset0:96 offset1:152
	ds_read2_b32 v[85:86], v9 offset0:48 offset1:104
	;; [unrolled: 1-line block ×12, first 2 shown]
	ds_read2_b32 v[69:70], v100 offset1:56
	ds_read2_b32 v[67:68], v25 offset0:192 offset1:248
	ds_read2_b32 v[65:66], v19 offset0:112 offset1:168
	;; [unrolled: 1-line block ×3, first 2 shown]
	v_fma_f32 v7, v10, 2.0, -v93
	v_sub_f32_e32 v10, v14, v6
	v_fma_f32 v14, v14, 2.0, -v10
	v_sub_f32_e32 v6, v14, v7
	v_add_f32_e32 v7, v10, v89
	s_waitcnt lgkmcnt(0)
	; wave barrier
	s_waitcnt lgkmcnt(0)
	ds_write2_b64 v39, v[104:105], v[102:103] offset1:1
	v_fma_f32 v102, v14, 2.0, -v6
	v_fma_f32 v103, v10, 2.0, -v7
	v_sub_f32_e32 v10, v12, v28
	ds_write2_b64 v90, v[102:103], v[6:7] offset1:1
	v_fma_f32 v6, v20, 2.0, -v95
	v_fma_f32 v12, v12, 2.0, -v10
	v_sub_f32_e32 v6, v12, v6
	v_add_f32_e32 v7, v10, v91
	v_fma_f32 v89, v12, 2.0, -v6
	v_fma_f32 v90, v10, 2.0, -v7
	v_sub_f32_e32 v14, v50, v18
	ds_write2_b64 v94, v[89:90], v[6:7] offset1:1
	v_fma_f32 v6, v16, 2.0, -v96
	v_fma_f32 v16, v50, 2.0, -v14
	;; [unrolled: 1-line block ×3, first 2 shown]
	v_sub_f32_e32 v38, v16, v6
	v_sub_f32_e32 v6, v46, v34
	v_add_f32_e32 v39, v14, v92
	v_add_f32_e32 v92, v6, v49
	v_fma_f32 v7, v24, 2.0, -v97
	v_fma_f32 v90, v14, 2.0, -v39
	;; [unrolled: 1-line block ×4, first 2 shown]
	v_sub_f32_e32 v6, v42, v32
	v_fma_f32 v10, v36, 2.0, -v98
	v_sub_f32_e32 v91, v14, v7
	v_fma_f32 v7, v42, 2.0, -v6
	v_add_f32_e32 v94, v6, v45
	v_sub_f32_e32 v93, v7, v10
	v_fma_f32 v46, v6, 2.0, -v94
	v_sub_f32_e32 v6, v48, v30
	v_fma_f32 v45, v7, 2.0, -v93
	v_fma_f32 v7, v48, 2.0, -v6
	v_add_f32_e32 v96, v6, v41
	v_sub_f32_e32 v95, v7, v12
	v_fma_f32 v42, v6, 2.0, -v96
	v_sub_f32_e32 v6, v44, v26
	v_fma_f32 v41, v7, 2.0, -v95
	v_fma_f32 v7, v44, 2.0, -v6
	;; [unrolled: 1-line block ×3, first 2 shown]
	v_sub_f32_e32 v97, v7, v10
	v_sub_f32_e32 v10, v8, v54
	v_fma_f32 v89, v16, 2.0, -v38
	v_fma_f32 v101, v7, 2.0, -v97
	v_add_f32_e32 v98, v6, v47
	v_add_f32_e32 v7, v10, v43
	v_fma_f32 v49, v14, 2.0, -v91
	v_fma_f32 v102, v6, 2.0, -v98
	ds_write2_b64 v27, v[89:90], v[38:39] offset1:1
	ds_write2_b64 v23, v[49:50], v[91:92] offset1:1
	;; [unrolled: 1-line block ×5, first 2 shown]
	s_and_saveexec_b64 s[2:3], vcc
	s_cbranch_execz .LBB0_19
; %bb.18:
	v_fma_f32 v8, v8, 2.0, -v10
	v_fma_f32 v6, v40, 2.0, -v35
	v_sub_f32_e32 v6, v8, v6
	v_fma_f32 v22, v8, 2.0, -v6
	v_fma_f32 v23, v10, 2.0, -v7
	ds_write2_b64 v33, v[22:23], v[6:7] offset1:1
.LBB0_19:
	s_or_b64 exec, exec, s[2:3]
	v_and_b32_e32 v8, 3, v0
	v_mul_u32_u24_e32 v6, 6, v8
	v_lshlrev_b32_e32 v6, 3, v6
	s_waitcnt lgkmcnt(0)
	; wave barrier
	s_waitcnt lgkmcnt(0)
	global_load_dwordx4 v[26:29], v6, s[8:9]
	global_load_dwordx4 v[37:40], v6, s[8:9] offset:16
	global_load_dwordx4 v[121:124], v6, s[8:9] offset:32
	ds_read2_b32 v[43:44], v1 offset1:56
	ds_read2_b32 v[32:33], v13 offset0:96 offset1:152
	ds_read2_b32 v[22:23], v9 offset0:48 offset1:104
	;; [unrolled: 1-line block ×12, first 2 shown]
	ds_read2_b32 v[133:134], v100 offset1:56
	ds_read2_b32 v[135:136], v25 offset0:192 offset1:248
	ds_read2_b32 v[137:138], v19 offset0:112 offset1:168
	;; [unrolled: 1-line block ×3, first 2 shown]
	ds_read_b32 v6, v1 offset:7616
	s_mov_b32 s4, 0x3f5ff5aa
	s_mov_b32 s5, 0x3f3bfb3b
	s_mov_b32 s6, 0xbf3bfb3b
	s_mov_b32 s7, 0xbeae86e6
	s_waitcnt lgkmcnt(0)
	; wave barrier
	s_waitcnt lgkmcnt(0)
	v_cmp_gt_u32_e32 vcc, 28, v0
	s_waitcnt vmcnt(2)
	v_mul_f32_e32 v10, v33, v27
	s_waitcnt vmcnt(1)
	v_mul_f32_e32 v100, v125, v38
	;; [unrolled: 2-line block ×3, first 2 shown]
	v_mul_f32_e32 v101, v42, v40
	v_fma_f32 v106, v52, v26, -v10
	v_mul_f32_e32 v10, v131, v40
	v_mul_f32_e32 v20, v98, v124
	;; [unrolled: 1-line block ×4, first 2 shown]
	v_fmac_f32_e32 v95, v98, v123
	v_fma_f32 v98, v77, v37, -v100
	v_fma_f32 v100, v84, v39, -v101
	;; [unrolled: 1-line block ×3, first 2 shown]
	v_mul_f32_e32 v10, v128, v122
	v_mul_f32_e32 v105, v99, v124
	;; [unrolled: 1-line block ×3, first 2 shown]
	v_fmac_f32_e32 v94, v99, v123
	v_fma_f32 v99, v76, v121, -v10
	v_mul_f32_e32 v10, v133, v124
	v_mul_f32_e32 v46, v79, v27
	;; [unrolled: 1-line block ×4, first 2 shown]
	v_fmac_f32_e32 v45, v103, v26
	v_fma_f32 v103, v69, v123, -v10
	v_mul_f32_e32 v10, v135, v27
	v_mul_f32_e32 v24, v102, v27
	;; [unrolled: 1-line block ×3, first 2 shown]
	v_fmac_f32_e32 v46, v102, v26
	v_fma_f32 v102, v75, v121, -v104
	v_mul_f32_e32 v104, v69, v124
	v_fma_f32 v69, v67, v26, -v10
	v_mul_f32_e32 v10, v130, v29
	v_mul_f32_e32 v48, v86, v29
	v_fma_f32 v97, v86, v28, -v34
	v_mul_f32_e32 v86, v71, v40
	v_fma_f32 v71, v74, v28, -v10
	v_mul_f32_e32 v10, v137, v38
	v_mul_f32_e32 v101, v76, v122
	v_fma_f32 v76, v65, v37, -v10
	v_mul_f32_e32 v10, v132, v40
	v_fma_f32 v96, v79, v26, -v24
	v_fma_f32 v79, v72, v39, -v10
	v_mul_f32_e32 v10, v139, v122
	v_mul_f32_e32 v16, v41, v40
	v_fma_f32 v120, v81, v123, -v20
	v_fma_f32 v81, v61, v121, -v10
	v_mul_f32_e32 v10, v134, v124
	;; [unrolled: 4-line block ×3, first 2 shown]
	v_mul_f32_e32 v47, v52, v27
	v_fma_f32 v52, v68, v26, -v10
	v_mul_f32_e32 v10, v30, v29
	v_mul_f32_e32 v14, v31, v38
	v_fma_f32 v105, v82, v123, -v105
	v_mul_f32_e32 v82, v61, v122
	v_fma_f32 v61, v63, v28, -v10
	v_mul_f32_e32 v10, v138, v38
	v_mul_f32_e32 v12, v22, v29
	;; [unrolled: 1-line block ×5, first 2 shown]
	v_fma_f32 v108, v64, v37, -v14
	v_fma_f32 v64, v66, v37, -v10
	v_mul_f32_e32 v10, v115, v40
	v_mul_f32_e32 v53, v77, v38
	;; [unrolled: 1-line block ×4, first 2 shown]
	v_fma_f32 v107, v85, v28, -v12
	v_fma_f32 v119, v60, v121, -v18
	;; [unrolled: 1-line block ×4, first 2 shown]
	v_mul_f32_e32 v78, v65, v38
	v_mul_f32_e32 v80, v72, v40
	;; [unrolled: 1-line block ×3, first 2 shown]
	v_fma_f32 v66, v59, v39, -v10
	v_mul_f32_e32 v10, v140, v122
	v_mul_f32_e32 v72, v21, v124
	;; [unrolled: 1-line block ×5, first 2 shown]
	v_fma_f32 v68, v62, v121, -v10
	v_mul_f32_e32 v10, v6, v124
	v_fmac_f32_e32 v72, v6, v123
	v_add_f32_e32 v6, v106, v120
	v_add_f32_e32 v12, v107, v119
	v_fmac_f32_e32 v50, v22, v28
	v_fmac_f32_e32 v89, v31, v37
	;; [unrolled: 1-line block ×4, first 2 shown]
	v_add_f32_e32 v16, v108, v118
	v_add_f32_e32 v20, v12, v6
	v_fmac_f32_e32 v47, v33, v26
	v_mul_f32_e32 v85, v70, v124
	v_fma_f32 v70, v21, v123, -v10
	v_sub_f32_e32 v14, v50, v93
	v_sub_f32_e32 v18, v91, v89
	v_sub_f32_e32 v21, v12, v6
	v_sub_f32_e32 v6, v6, v16
	v_sub_f32_e32 v12, v16, v12
	v_add_f32_e32 v16, v16, v20
	v_fmac_f32_e32 v48, v23, v28
	v_mul_f32_e32 v67, v67, v27
	v_sub_f32_e32 v10, v47, v95
	v_add_f32_e32 v22, v18, v14
	v_sub_f32_e32 v23, v18, v14
	v_add_f32_e32 v20, v57, v16
	v_fmac_f32_e32 v67, v135, v26
	v_fmac_f32_e32 v60, v136, v26
	v_sub_f32_e32 v18, v10, v18
	v_sub_f32_e32 v14, v14, v10
	v_add_f32_e32 v10, v22, v10
	v_mul_f32_e32 v6, 0x3f4a47b2, v6
	v_mul_f32_e32 v22, 0x3d64c772, v12
	;; [unrolled: 1-line block ×3, first 2 shown]
	v_mov_b32_e32 v26, v20
	v_mul_f32_e32 v24, 0x3f5ff5aa, v14
	v_fmac_f32_e32 v26, 0xbf955555, v16
	v_fma_f32 v16, v21, s5, -v22
	v_fma_f32 v21, v21, s6, -v6
	v_fmac_f32_e32 v6, 0x3d64c772, v12
	v_fma_f32 v12, v14, s4, -v23
	v_fmac_f32_e32 v23, 0x3eae86e6, v18
	v_fma_f32 v14, v18, s7, -v24
	v_add_f32_e32 v6, v6, v26
	v_add_f32_e32 v16, v16, v26
	v_fmac_f32_e32 v23, 0x3ee1c552, v10
	v_fmac_f32_e32 v12, 0x3ee1c552, v10
	v_mul_f32_e32 v141, v129, v29
	v_mul_f32_e32 v49, v73, v29
	;; [unrolled: 1-line block ×4, first 2 shown]
	v_fmac_f32_e32 v14, 0x3ee1c552, v10
	v_add_f32_e32 v10, v23, v6
	v_sub_f32_e32 v22, v16, v12
	v_add_f32_e32 v12, v12, v16
	v_sub_f32_e32 v16, v6, v23
	v_add_f32_e32 v6, v96, v105
	v_add_f32_e32 v23, v97, v102
	v_fmac_f32_e32 v53, v125, v37
	v_fmac_f32_e32 v90, v42, v39
	;; [unrolled: 1-line block ×3, first 2 shown]
	v_fma_f32 v73, v73, v28, -v141
	v_fmac_f32_e32 v49, v129, v28
	v_fmac_f32_e32 v74, v130, v28
	;; [unrolled: 1-line block ×3, first 2 shown]
	v_add_f32_e32 v18, v21, v26
	v_add_f32_e32 v26, v98, v100
	;; [unrolled: 1-line block ×3, first 2 shown]
	v_sub_f32_e32 v24, v48, v92
	v_sub_f32_e32 v27, v90, v53
	;; [unrolled: 1-line block ×5, first 2 shown]
	v_add_f32_e32 v26, v26, v28
	v_add_f32_e32 v21, v14, v18
	v_sub_f32_e32 v14, v18, v14
	v_sub_f32_e32 v18, v46, v94
	v_add_f32_e32 v30, v27, v24
	v_sub_f32_e32 v31, v27, v24
	v_add_f32_e32 v28, v58, v26
	v_sub_f32_e32 v27, v18, v27
	v_sub_f32_e32 v24, v24, v18
	v_add_f32_e32 v18, v30, v18
	v_mul_f32_e32 v6, 0x3f4a47b2, v6
	v_mul_f32_e32 v30, 0x3d64c772, v23
	;; [unrolled: 1-line block ×3, first 2 shown]
	v_mov_b32_e32 v34, v28
	v_mul_f32_e32 v33, 0x3f5ff5aa, v24
	v_fmac_f32_e32 v34, 0xbf955555, v26
	v_fma_f32 v26, v29, s5, -v30
	v_fma_f32 v29, v29, s6, -v6
	v_fmac_f32_e32 v6, 0x3d64c772, v23
	v_fma_f32 v23, v24, s4, -v31
	v_fmac_f32_e32 v31, 0x3eae86e6, v27
	v_fma_f32 v24, v27, s7, -v33
	v_add_f32_e32 v6, v6, v34
	v_add_f32_e32 v26, v26, v34
	v_fmac_f32_e32 v31, 0x3ee1c552, v18
	v_fmac_f32_e32 v23, 0x3ee1c552, v18
	;; [unrolled: 1-line block ×3, first 2 shown]
	v_add_f32_e32 v18, v31, v6
	v_sub_f32_e32 v30, v26, v23
	v_add_f32_e32 v23, v23, v26
	v_sub_f32_e32 v26, v6, v31
	v_add_f32_e32 v6, v75, v103
	v_add_f32_e32 v31, v73, v99
	v_fmac_f32_e32 v54, v126, v37
	v_fmac_f32_e32 v86, v131, v39
	;; [unrolled: 1-line block ×3, first 2 shown]
	v_mul_f32_e32 v59, v59, v40
	v_add_f32_e32 v27, v29, v34
	v_add_f32_e32 v34, v77, v84
	;; [unrolled: 1-line block ×3, first 2 shown]
	v_fmac_f32_e32 v104, v133, v123
	v_fmac_f32_e32 v78, v137, v37
	;; [unrolled: 1-line block ×5, first 2 shown]
	v_sub_f32_e32 v33, v49, v101
	v_sub_f32_e32 v37, v86, v54
	;; [unrolled: 1-line block ×5, first 2 shown]
	v_add_f32_e32 v34, v34, v38
	v_add_f32_e32 v29, v24, v27
	v_sub_f32_e32 v24, v27, v24
	v_sub_f32_e32 v27, v45, v104
	v_add_f32_e32 v40, v37, v33
	v_sub_f32_e32 v41, v37, v33
	v_add_f32_e32 v38, v55, v34
	v_sub_f32_e32 v37, v27, v37
	v_sub_f32_e32 v33, v33, v27
	v_add_f32_e32 v27, v40, v27
	v_mul_f32_e32 v6, 0x3f4a47b2, v6
	v_mul_f32_e32 v40, 0x3d64c772, v31
	;; [unrolled: 1-line block ×3, first 2 shown]
	v_mov_b32_e32 v55, v38
	v_mul_f32_e32 v42, 0x3f5ff5aa, v33
	v_fmac_f32_e32 v55, 0xbf955555, v34
	v_fma_f32 v34, v39, s5, -v40
	v_fma_f32 v39, v39, s6, -v6
	v_fmac_f32_e32 v6, 0x3d64c772, v31
	v_fma_f32 v31, v33, s4, -v41
	v_fmac_f32_e32 v41, 0x3eae86e6, v37
	v_fma_f32 v33, v37, s7, -v42
	v_add_f32_e32 v6, v6, v55
	v_add_f32_e32 v34, v34, v55
	v_fmac_f32_e32 v41, 0x3ee1c552, v27
	v_fmac_f32_e32 v31, 0x3ee1c552, v27
	;; [unrolled: 1-line block ×3, first 2 shown]
	v_add_f32_e32 v27, v41, v6
	v_sub_f32_e32 v40, v34, v31
	v_add_f32_e32 v31, v31, v34
	v_sub_f32_e32 v34, v6, v41
	v_add_f32_e32 v6, v69, v83
	v_add_f32_e32 v41, v71, v81
	v_fmac_f32_e32 v82, v139, v121
	v_fmac_f32_e32 v85, v134, v123
	v_add_f32_e32 v37, v39, v55
	v_add_f32_e32 v55, v76, v79
	;; [unrolled: 1-line block ×4, first 2 shown]
	v_sub_f32_e32 v33, v37, v33
	v_sub_f32_e32 v37, v67, v85
	;; [unrolled: 1-line block ×7, first 2 shown]
	v_add_f32_e32 v55, v55, v58
	v_mul_f32_e32 v62, v62, v122
	v_add_f32_e32 v116, v57, v42
	v_sub_f32_e32 v117, v57, v42
	v_sub_f32_e32 v42, v42, v37
	v_add_f32_e32 v58, v56, v55
	v_fmac_f32_e32 v62, v140, v121
	v_sub_f32_e32 v57, v37, v57
	v_add_f32_e32 v37, v116, v37
	v_mul_f32_e32 v6, 0x3f4a47b2, v6
	v_mul_f32_e32 v56, 0x3d64c772, v41
	;; [unrolled: 1-line block ×4, first 2 shown]
	v_mov_b32_e32 v121, v58
	v_fmac_f32_e32 v121, 0xbf955555, v55
	v_fma_f32 v55, v115, s5, -v56
	v_fma_f32 v56, v115, s6, -v6
	v_fmac_f32_e32 v6, 0x3d64c772, v41
	v_fma_f32 v41, v42, s4, -v116
	v_fmac_f32_e32 v116, 0x3eae86e6, v57
	v_fma_f32 v42, v57, s7, -v117
	v_add_f32_e32 v6, v6, v121
	v_add_f32_e32 v56, v56, v121
	v_fmac_f32_e32 v116, 0x3ee1c552, v37
	v_fmac_f32_e32 v42, 0x3ee1c552, v37
	v_fmac_f32_e32 v41, 0x3ee1c552, v37
	v_add_f32_e32 v37, v116, v6
	v_add_f32_e32 v115, v42, v56
	v_sub_f32_e32 v42, v56, v42
	v_sub_f32_e32 v116, v6, v116
	v_add_f32_e32 v6, v52, v70
	v_add_f32_e32 v56, v61, v68
	;; [unrolled: 1-line block ×5, first 2 shown]
	v_sub_f32_e32 v57, v63, v62
	v_sub_f32_e32 v122, v59, v65
	;; [unrolled: 1-line block ×5, first 2 shown]
	v_add_f32_e32 v121, v121, v123
	v_sub_f32_e32 v117, v55, v41
	v_add_f32_e32 v41, v41, v55
	v_sub_f32_e32 v55, v60, v72
	;; [unrolled: 2-line block ×4, first 2 shown]
	v_sub_f32_e32 v57, v57, v55
	v_add_f32_e32 v55, v125, v55
	v_mul_f32_e32 v6, 0x3f4a47b2, v6
	v_mul_f32_e32 v51, 0x3d64c772, v56
	v_mul_f32_e32 v125, 0xbf08b237, v126
	v_mov_b32_e32 v127, v123
	v_fmac_f32_e32 v127, 0xbf955555, v121
	v_fma_f32 v51, v124, s5, -v51
	v_fma_f32 v121, v124, s6, -v6
	v_fmac_f32_e32 v6, 0x3d64c772, v56
	v_fma_f32 v56, v57, s4, -v125
	v_mul_f32_e32 v126, 0x3f5ff5aa, v57
	v_add_f32_e32 v51, v51, v127
	v_fmac_f32_e32 v56, 0x3ee1c552, v55
	v_fma_f32 v57, v122, s7, -v126
	v_add_f32_e32 v6, v6, v127
	v_add_f32_e32 v121, v121, v127
	v_sub_f32_e32 v126, v51, v56
	v_add_f32_e32 v127, v56, v51
	v_lshrrev_b32_e32 v51, 2, v0
	v_mul_u32_u24_e32 v51, 28, v51
	v_or_b32_e32 v51, v51, v8
	v_lshl_add_u32 v51, v51, 2, 0
	ds_write2_b32 v51, v20, v10 offset1:4
	ds_write2_b32 v51, v21, v22 offset0:8 offset1:12
	ds_write2_b32 v51, v12, v14 offset0:16 offset1:20
	ds_write_b32 v51, v16 offset:96
	v_lshrrev_b32_e32 v10, 2, v111
	v_mul_u32_u24_e32 v10, 28, v10
	v_fmac_f32_e32 v125, 0x3eae86e6, v122
	v_or_b32_e32 v10, v10, v8
	v_fmac_f32_e32 v125, 0x3ee1c552, v55
	v_fmac_f32_e32 v57, 0x3ee1c552, v55
	v_lshl_add_u32 v55, v10, 2, 0
	v_lshrrev_b32_e32 v10, 2, v112
	v_mul_u32_u24_e32 v10, 28, v10
	v_or_b32_e32 v10, v10, v8
	v_lshl_add_u32 v56, v10, 2, 0
	v_lshrrev_b32_e32 v10, 2, v113
	v_mul_u32_u24_e32 v10, 28, v10
	v_or_b32_e32 v10, v10, v8
	v_add_f32_e32 v124, v57, v121
	v_sub_f32_e32 v121, v121, v57
	v_lshl_add_u32 v57, v10, 2, 0
	v_lshrrev_b32_e32 v10, 2, v110
	v_mul_u32_u24_e32 v10, 28, v10
	v_or_b32_e32 v8, v10, v8
	v_add_f32_e32 v122, v125, v6
	ds_write2_b32 v55, v28, v18 offset1:4
	ds_write2_b32 v55, v29, v30 offset0:8 offset1:12
	ds_write2_b32 v55, v23, v24 offset0:16 offset1:20
	ds_write_b32 v55, v26 offset:96
	ds_write2_b32 v56, v38, v27 offset1:4
	ds_write2_b32 v56, v39, v40 offset0:8 offset1:12
	ds_write2_b32 v56, v31, v33 offset0:16 offset1:20
	ds_write_b32 v56, v34 offset:96
	;; [unrolled: 4-line block ×3, first 2 shown]
	v_lshl_add_u32 v58, v8, 2, 0
	v_sub_f32_e32 v6, v6, v125
	ds_write2_b32 v58, v123, v122 offset1:4
	ds_write2_b32 v58, v124, v126 offset0:8 offset1:12
	ds_write2_b32 v58, v127, v121 offset0:16 offset1:20
	ds_write_b32 v58, v6 offset:96
	s_waitcnt lgkmcnt(0)
	; wave barrier
	s_waitcnt lgkmcnt(0)
	ds_read2_b32 v[41:42], v1 offset1:56
	ds_read2_b32 v[22:23], v19 offset0:84 offset1:140
	ds_read2_b32 v[39:40], v1 offset0:112 offset1:168
	;; [unrolled: 1-line block ×7, first 2 shown]
	v_add_u32_e32 v122, 0x600, v1
	v_add_u32_e32 v121, 0xa00, v1
	;; [unrolled: 1-line block ×3, first 2 shown]
	v_lshl_add_u32 v115, v87, 2, 0
	ds_read2_b32 v[14:15], v15 offset0:148 offset1:204
	ds_read2_b32 v[30:31], v122 offset0:120 offset1:176
	;; [unrolled: 1-line block ×8, first 2 shown]
	ds_read_b32 v117, v115
	ds_read_b32 v116, v1 offset:7504
	s_and_saveexec_b64 s[2:3], vcc
	s_cbranch_execz .LBB0_21
; %bb.20:
	ds_read_b32 v6, v1 offset:3808
	ds_read_b32 v5, v1 offset:7728
.LBB0_21:
	s_or_b64 exec, exec, s[2:3]
	v_add_f32_e32 v4, v47, v95
	v_add_f32_e32 v50, v50, v93
	;; [unrolled: 1-line block ×4, first 2 shown]
	v_sub_f32_e32 v47, v106, v120
	v_sub_f32_e32 v93, v107, v119
	;; [unrolled: 1-line block ×6, first 2 shown]
	v_add_f32_e32 v89, v89, v95
	v_add_f32_e32 v107, v91, v93
	v_sub_f32_e32 v108, v91, v93
	v_sub_f32_e32 v93, v93, v47
	v_add_f32_e32 v43, v43, v89
	v_sub_f32_e32 v91, v47, v91
	v_add_f32_e32 v47, v107, v47
	v_mul_f32_e32 v4, 0x3f4a47b2, v4
	v_mul_f32_e32 v95, 0x3d64c772, v50
	;; [unrolled: 1-line block ×4, first 2 shown]
	v_mov_b32_e32 v118, v43
	v_fmac_f32_e32 v118, 0xbf955555, v89
	v_fma_f32 v89, v106, s5, -v95
	v_fma_f32 v95, v106, s6, -v4
	v_fmac_f32_e32 v4, 0x3d64c772, v50
	v_fma_f32 v50, v93, s4, -v107
	v_fmac_f32_e32 v107, 0x3eae86e6, v91
	v_fma_f32 v91, v91, s7, -v108
	v_add_f32_e32 v89, v89, v118
	v_add_f32_e32 v93, v95, v118
	v_fmac_f32_e32 v50, 0x3ee1c552, v47
	v_fmac_f32_e32 v91, 0x3ee1c552, v47
	v_add_f32_e32 v46, v46, v94
	v_add_f32_e32 v48, v48, v92
	v_sub_f32_e32 v95, v93, v91
	v_add_f32_e32 v106, v50, v89
	v_sub_f32_e32 v50, v89, v50
	v_add_f32_e32 v89, v91, v93
	v_add_f32_e32 v53, v53, v90
	;; [unrolled: 1-line block ×3, first 2 shown]
	v_sub_f32_e32 v91, v96, v105
	v_sub_f32_e32 v92, v97, v102
	;; [unrolled: 1-line block ×6, first 2 shown]
	v_add_f32_e32 v53, v53, v93
	v_add_f32_e32 v96, v90, v92
	v_sub_f32_e32 v97, v90, v92
	v_sub_f32_e32 v92, v92, v91
	v_add_f32_e32 v44, v44, v53
	v_sub_f32_e32 v90, v91, v90
	v_add_f32_e32 v91, v96, v91
	v_mul_f32_e32 v46, 0x3f4a47b2, v46
	v_mul_f32_e32 v93, 0x3d64c772, v48
	;; [unrolled: 1-line block ×4, first 2 shown]
	v_mov_b32_e32 v98, v44
	v_add_f32_e32 v45, v45, v104
	v_add_f32_e32 v49, v49, v101
	v_fmac_f32_e32 v98, 0xbf955555, v53
	v_fma_f32 v53, v94, s5, -v93
	v_fma_f32 v93, v94, s6, -v46
	v_fmac_f32_e32 v46, 0x3d64c772, v48
	v_fma_f32 v48, v92, s4, -v96
	v_fmac_f32_e32 v96, 0x3eae86e6, v90
	v_fma_f32 v90, v90, s7, -v97
	v_add_f32_e32 v54, v54, v86
	v_sub_f32_e32 v77, v84, v77
	v_add_f32_e32 v84, v49, v45
	v_add_f32_e32 v53, v53, v98
	;; [unrolled: 1-line block ×3, first 2 shown]
	v_fmac_f32_e32 v48, 0x3ee1c552, v91
	v_fmac_f32_e32 v90, 0x3ee1c552, v91
	v_sub_f32_e32 v75, v75, v103
	v_sub_f32_e32 v73, v73, v99
	;; [unrolled: 1-line block ×5, first 2 shown]
	v_add_f32_e32 v54, v54, v84
	v_add_f32_e32 v46, v46, v98
	v_fmac_f32_e32 v96, 0x3ee1c552, v91
	v_sub_f32_e32 v93, v92, v90
	v_add_f32_e32 v94, v48, v53
	v_sub_f32_e32 v48, v53, v48
	v_add_f32_e32 v53, v90, v92
	v_add_f32_e32 v90, v77, v73
	v_sub_f32_e32 v92, v77, v73
	v_sub_f32_e32 v73, v73, v75
	v_add_f32_e32 v35, v35, v54
	v_sub_f32_e32 v91, v46, v96
	v_add_f32_e32 v46, v96, v46
	;; [unrolled: 2-line block ×3, first 2 shown]
	v_mul_f32_e32 v45, 0x3f4a47b2, v45
	v_mul_f32_e32 v84, 0x3d64c772, v49
	;; [unrolled: 1-line block ×4, first 2 shown]
	v_mov_b32_e32 v96, v35
	v_fmac_f32_e32 v96, 0xbf955555, v54
	v_fma_f32 v54, v86, s5, -v84
	v_fma_f32 v84, v86, s6, -v45
	v_fmac_f32_e32 v45, 0x3d64c772, v49
	v_fma_f32 v49, v73, s4, -v90
	v_fma_f32 v73, v77, s7, -v92
	v_fmac_f32_e32 v90, 0x3eae86e6, v77
	v_add_f32_e32 v54, v54, v96
	v_add_f32_e32 v77, v84, v96
	v_fmac_f32_e32 v49, 0x3ee1c552, v75
	v_fmac_f32_e32 v73, 0x3ee1c552, v75
	v_sub_f32_e32 v84, v77, v73
	v_add_f32_e32 v86, v49, v54
	v_sub_f32_e32 v49, v54, v49
	v_add_f32_e32 v54, v73, v77
	v_add_f32_e32 v67, v67, v85
	v_add_f32_e32 v73, v74, v82
	v_add_f32_e32 v60, v60, v72
	v_add_f32_e32 v62, v63, v62
	v_add_f32_e32 v74, v78, v80
	v_add_f32_e32 v77, v73, v67
	v_add_f32_e32 v59, v65, v59
	v_sub_f32_e32 v63, v66, v64
	v_add_f32_e32 v64, v62, v60
	v_sub_f32_e32 v69, v69, v83
	v_sub_f32_e32 v71, v71, v81
	;; [unrolled: 1-line block ×6, first 2 shown]
	v_add_f32_e32 v74, v74, v77
	v_sub_f32_e32 v52, v52, v70
	v_sub_f32_e32 v61, v61, v68
	v_sub_f32_e32 v65, v62, v60
	v_sub_f32_e32 v60, v60, v59
	v_sub_f32_e32 v62, v59, v62
	v_add_f32_e32 v59, v59, v64
	v_add_f32_e32 v79, v76, v71
	v_sub_f32_e32 v80, v76, v71
	v_sub_f32_e32 v71, v71, v69
	v_add_f32_e32 v36, v36, v74
	v_add_f32_e32 v66, v63, v61
	v_sub_f32_e32 v68, v63, v61
	v_sub_f32_e32 v61, v61, v52
	v_add_f32_e32 v32, v32, v59
	v_sub_f32_e32 v76, v69, v76
	v_add_f32_e32 v69, v79, v69
	v_mul_f32_e32 v67, 0x3f4a47b2, v67
	v_mul_f32_e32 v77, 0x3d64c772, v73
	;; [unrolled: 1-line block ×4, first 2 shown]
	v_mov_b32_e32 v81, v36
	v_sub_f32_e32 v63, v52, v63
	v_add_f32_e32 v52, v66, v52
	v_mul_f32_e32 v60, 0x3f4a47b2, v60
	v_mul_f32_e32 v64, 0x3d64c772, v62
	;; [unrolled: 1-line block ×4, first 2 shown]
	v_mov_b32_e32 v70, v32
	v_add_f32_e32 v4, v4, v118
	v_fmac_f32_e32 v107, 0x3ee1c552, v47
	v_fmac_f32_e32 v81, 0xbf955555, v74
	v_fma_f32 v74, v78, s5, -v77
	v_fma_f32 v77, v78, s6, -v67
	v_fmac_f32_e32 v67, 0x3d64c772, v73
	v_fma_f32 v71, v71, s4, -v79
	v_fmac_f32_e32 v79, 0x3eae86e6, v76
	;; [unrolled: 2-line block ×3, first 2 shown]
	v_fma_f32 v59, v65, s5, -v64
	v_fma_f32 v64, v65, s6, -v60
	v_fmac_f32_e32 v60, 0x3d64c772, v62
	v_fma_f32 v61, v61, s4, -v66
	v_fmac_f32_e32 v66, 0x3eae86e6, v63
	v_fma_f32 v62, v63, s7, -v68
	v_sub_f32_e32 v47, v4, v107
	v_add_f32_e32 v4, v107, v4
	v_add_f32_e32 v45, v45, v96
	v_fmac_f32_e32 v90, 0x3ee1c552, v75
	v_add_f32_e32 v67, v67, v81
	v_add_f32_e32 v74, v74, v81
	;; [unrolled: 1-line block ×3, first 2 shown]
	v_fmac_f32_e32 v79, 0x3ee1c552, v69
	v_fmac_f32_e32 v71, 0x3ee1c552, v69
	;; [unrolled: 1-line block ×3, first 2 shown]
	v_add_f32_e32 v60, v60, v70
	v_add_f32_e32 v59, v59, v70
	v_add_f32_e32 v63, v64, v70
	v_fmac_f32_e32 v66, 0x3ee1c552, v52
	v_fmac_f32_e32 v61, 0x3ee1c552, v52
	v_fmac_f32_e32 v62, 0x3ee1c552, v52
	v_sub_f32_e32 v75, v45, v90
	v_add_f32_e32 v45, v90, v45
	v_sub_f32_e32 v69, v67, v79
	v_sub_f32_e32 v77, v76, v73
	v_add_f32_e32 v78, v71, v74
	v_sub_f32_e32 v71, v74, v71
	v_add_f32_e32 v73, v73, v76
	v_add_f32_e32 v67, v79, v67
	v_sub_f32_e32 v52, v60, v66
	v_sub_f32_e32 v64, v63, v62
	v_add_f32_e32 v65, v61, v59
	v_sub_f32_e32 v59, v59, v61
	v_add_f32_e32 v61, v62, v63
	v_add_f32_e32 v118, v66, v60
	s_waitcnt lgkmcnt(0)
	; wave barrier
	s_waitcnt lgkmcnt(0)
	ds_write2_b32 v51, v43, v47 offset1:4
	ds_write2_b32 v51, v95, v106 offset0:8 offset1:12
	ds_write2_b32 v51, v50, v89 offset0:16 offset1:20
	ds_write_b32 v51, v4 offset:96
	ds_write2_b32 v55, v44, v91 offset1:4
	ds_write2_b32 v55, v93, v94 offset0:8 offset1:12
	ds_write2_b32 v55, v48, v53 offset0:16 offset1:20
	ds_write_b32 v55, v46 offset:96
	ds_write2_b32 v56, v35, v75 offset1:4
	ds_write2_b32 v56, v84, v86 offset0:8 offset1:12
	ds_write2_b32 v56, v49, v54 offset0:16 offset1:20
	ds_write_b32 v56, v45 offset:96
	ds_write2_b32 v57, v36, v69 offset1:4
	ds_write2_b32 v57, v77, v78 offset0:8 offset1:12
	ds_write2_b32 v57, v71, v73 offset0:16 offset1:20
	ds_write_b32 v57, v67 offset:96
	ds_write2_b32 v58, v32, v52 offset1:4
	ds_write2_b32 v58, v64, v65 offset0:8 offset1:12
	ds_write2_b32 v58, v59, v61 offset0:16 offset1:20
	ds_write_b32 v58, v118 offset:96
	v_add_u32_e32 v4, 0xe00, v1
	s_waitcnt lgkmcnt(0)
	; wave barrier
	s_waitcnt lgkmcnt(0)
	ds_read2_b32 v[55:56], v1 offset1:56
	ds_read2_b32 v[71:72], v4 offset0:84 offset1:140
	ds_read2_b32 v[51:52], v1 offset0:112 offset1:168
	v_add_u32_e32 v4, 0x1000, v1
	v_add_u32_e32 v32, 0x200, v1
	ds_read2_b32 v[69:70], v4 offset0:68 offset1:124
	ds_read2_b32 v[53:54], v32 offset0:96 offset1:152
	;; [unrolled: 1-line block ×3, first 2 shown]
	v_add_u32_e32 v4, 0x400, v1
	ds_read2_b32 v[49:50], v4 offset0:80 offset1:136
	v_add_u32_e32 v4, 0x1400, v1
	ds_read2_b32 v[65:66], v4 offset0:36 offset1:92
	ds_read2_b32 v[63:64], v4 offset0:148 offset1:204
	;; [unrolled: 1-line block ×3, first 2 shown]
	v_add_u32_e32 v4, 0x1800, v1
	v_add_u32_e32 v32, 0x800, v1
	ds_read2_b32 v[61:62], v4 offset0:4 offset1:60
	ds_read2_b32 v[47:48], v32 offset0:104 offset1:160
	;; [unrolled: 1-line block ×5, first 2 shown]
	v_add_u32_e32 v4, 0xc00, v1
	ds_read2_b32 v[35:36], v4 offset0:72 offset1:128
	ds_read_b32 v32, v115
	ds_read_b32 v119, v1 offset:7504
	s_and_saveexec_b64 s[2:3], vcc
	s_cbranch_execz .LBB0_23
; %bb.22:
	ds_read_b32 v118, v1 offset:3808
	ds_read_b32 v7, v1 offset:7728
.LBB0_23:
	s_or_b64 exec, exec, s[2:3]
	v_subrev_u32_e32 v4, 28, v0
	v_cndmask_b32_e32 v89, v4, v0, vcc
	v_mov_b32_e32 v90, 0
	v_lshlrev_b64 v[73:74], 3, v[89:90]
	v_mov_b32_e32 v4, s9
	v_add_co_u32_e64 v73, s[2:3], s8, v73
	v_addc_co_u32_e64 v74, s[2:3], v4, v74, s[2:3]
	global_load_dwordx2 v[73:74], v[73:74], off offset:192
	v_lshrrev_b16_e32 v75, 2, v111
	v_lshrrev_b16_e32 v80, 2, v110
	v_and_b32_e32 v75, 63, v75
	v_mov_b32_e32 v76, 28
	v_lshrrev_b16_e32 v78, 2, v112
	v_lshrrev_b16_e32 v79, 2, v113
	;; [unrolled: 1-line block ×5, first 2 shown]
	v_add_u16_e32 v86, 0x230, v0
	v_add_u16_e32 v90, 0x268, v0
	v_mul_u32_u24_e32 v80, 0x4925, v80
	v_mul_lo_u16_e32 v121, 37, v75
	v_lshrrev_b16_e32 v84, 2, v87
	v_add_u16_e32 v85, 0x1f8, v0
	v_and_b32_e32 v78, 63, v78
	v_and_b32_e32 v79, 63, v79
	v_mul_u32_u24_e32 v81, 0x4925, v81
	v_mul_u32_u24_e32 v82, 0x4925, v82
	;; [unrolled: 1-line block ×3, first 2 shown]
	v_lshrrev_b16_e32 v92, 2, v86
	v_lshrrev_b16_e32 v93, 2, v90
	v_lshrrev_b32_e32 v124, 17, v80
	v_mul_lo_u16_sdwa v80, v121, v76 dst_sel:DWORD dst_unused:UNUSED_PAD src0_sel:BYTE_1 src1_sel:DWORD
	v_mov_b32_e32 v77, 3
	v_mul_u32_u24_e32 v84, 0x4925, v84
	v_lshrrev_b16_e32 v91, 2, v85
	v_mul_lo_u16_e32 v122, 37, v78
	v_mul_lo_u16_e32 v123, 37, v79
	v_lshrrev_b32_e32 v125, 17, v81
	v_lshrrev_b32_e32 v126, 17, v82
	;; [unrolled: 1-line block ×3, first 2 shown]
	v_mul_u32_u24_e32 v78, 0x4925, v92
	v_mul_u32_u24_e32 v79, 0x4925, v93
	v_sub_u16_e32 v132, v111, v80
	v_lshrrev_b32_e32 v128, 17, v84
	v_mul_u32_u24_e32 v75, 0x4925, v91
	v_mul_lo_u16_sdwa v81, v122, v76 dst_sel:DWORD dst_unused:UNUSED_PAD src0_sel:BYTE_1 src1_sel:DWORD
	v_mul_lo_u16_sdwa v76, v123, v76 dst_sel:DWORD dst_unused:UNUSED_PAD src0_sel:BYTE_1 src1_sel:DWORD
	v_mul_lo_u16_e32 v83, 28, v125
	v_mul_lo_u16_e32 v84, 28, v126
	;; [unrolled: 1-line block ×3, first 2 shown]
	v_lshrrev_b32_e32 v130, 17, v78
	v_lshrrev_b32_e32 v131, 17, v79
	v_lshlrev_b32_sdwa v78, v77, v132 dst_sel:DWORD dst_unused:UNUSED_PAD src0_sel:DWORD src1_sel:BYTE_0
	v_mul_lo_u16_e32 v82, 28, v124
	v_lshrrev_b32_e32 v129, 17, v75
	v_sub_u16_e32 v133, v112, v81
	v_sub_u16_e32 v134, v113, v76
	v_sub_u16_e32 v136, v114, v83
	v_sub_u16_e32 v137, v109, v84
	global_load_dwordx2 v[83:84], v78, s[8:9] offset:192
	v_sub_u16_e32 v138, v88, v91
	v_mul_lo_u16_e32 v91, 28, v131
	v_mul_lo_u16_e32 v92, 28, v128
	v_sub_u16_e32 v135, v110, v82
	v_mul_lo_u16_e32 v75, 28, v129
	v_mul_lo_u16_e32 v76, 28, v130
	v_lshlrev_b32_sdwa v79, v77, v133 dst_sel:DWORD dst_unused:UNUSED_PAD src0_sel:DWORD src1_sel:BYTE_0
	v_lshlrev_b32_sdwa v80, v77, v134 dst_sel:DWORD dst_unused:UNUSED_PAD src0_sel:DWORD src1_sel:BYTE_0
	v_lshlrev_b32_e32 v95, 3, v138
	v_sub_u16_e32 v142, v90, v91
	v_add_u16_e32 v91, 0x2a0, v0
	v_sub_u16_e32 v139, v87, v92
	v_lshlrev_b32_e32 v92, 3, v135
	v_lshlrev_b32_e32 v93, 3, v136
	;; [unrolled: 1-line block ×3, first 2 shown]
	v_sub_u16_e32 v140, v85, v75
	v_sub_u16_e32 v141, v86, v76
	global_load_dwordx2 v[87:88], v79, s[8:9] offset:192
	global_load_dwordx2 v[85:86], v80, s[8:9] offset:192
	;; [unrolled: 1-line block ×5, first 2 shown]
                                        ; kill: killed $vgpr93
                                        ; kill: killed $vgpr79
                                        ; kill: killed $vgpr80
                                        ; kill: killed $vgpr92
                                        ; kill: killed $vgpr94
	s_nop 0
	global_load_dwordx2 v[79:80], v95, s[8:9] offset:192
	v_lshrrev_b16_e32 v95, 2, v91
	v_mul_u32_u24_e32 v95, 0x4925, v95
	v_lshrrev_b32_e32 v143, 17, v95
	v_mul_lo_u16_e32 v95, 28, v143
	v_sub_u16_e32 v144, v91, v95
	v_add_u16_e32 v91, 0x2d8, v0
	v_lshrrev_b16_e32 v95, 2, v91
	v_mul_u32_u24_e32 v95, 0x4925, v95
	v_lshrrev_b32_e32 v145, 17, v95
	v_mul_lo_u16_e32 v95, 28, v145
	v_sub_u16_e32 v146, v91, v95
	v_add_u16_e32 v91, 0x310, v0
	;; [unrolled: 6-line block ×4, first 2 shown]
	v_lshrrev_b16_e32 v95, 2, v91
	v_mul_u32_u24_e32 v95, 0x4925, v95
	v_lshrrev_b32_e32 v95, 17, v95
	v_or_b32_e32 v4, 0x380, v0
	v_mul_lo_u16_e32 v95, 28, v95
	v_sub_u16_e32 v151, v91, v95
	v_lshrrev_b16_e32 v91, 2, v4
	v_mul_u32_u24_e32 v91, 0x4925, v91
	v_lshrrev_b32_e32 v152, 17, v91
	v_mov_b32_e32 v91, 0xe0
	v_cmp_lt_u32_e64 s[2:3], 27, v0
	v_lshlrev_b32_e32 v89, 2, v89
	v_cndmask_b32_e64 v91, 0, v91, s[2:3]
	s_waitcnt vmcnt(7) lgkmcnt(14)
	v_mul_f32_e32 v94, v71, v74
	v_add3_u32 v120, 0, v91, v89
	v_mul_lo_u16_e32 v89, 28, v152
	v_lshlrev_b32_e32 v92, 3, v140
	v_lshlrev_b32_e32 v93, 3, v141
	v_fma_f32 v94, v22, v73, -v94
	v_sub_u16_e32 v153, v4, v89
	v_lshlrev_b32_e32 v89, 3, v139
	v_lshlrev_b32_e32 v90, 3, v142
	global_load_dwordx2 v[95:96], v92, s[8:9] offset:192
	v_sub_f32_e32 v154, v41, v94
	global_load_dwordx2 v[93:94], v93, s[8:9] offset:192
	s_nop 0
	global_load_dwordx2 v[91:92], v90, s[8:9] offset:192
	global_load_dwordx2 v[107:108], v89, s[8:9] offset:192
	v_lshlrev_b32_e32 v89, 3, v144
	v_lshlrev_b32_e32 v97, 3, v148
	;; [unrolled: 1-line block ×4, first 2 shown]
	global_load_dwordx2 v[105:106], v89, s[8:9] offset:192
	global_load_dwordx2 v[103:104], v90, s[8:9] offset:192
	;; [unrolled: 1-line block ×3, first 2 shown]
	s_nop 0
	global_load_dwordx2 v[97:98], v98, s[8:9] offset:192
	v_lshlrev_b32_e32 v89, 3, v153
	v_lshlrev_b32_e32 v90, 3, v151
	global_load_dwordx2 v[99:100], v89, s[8:9] offset:192
	s_nop 0
	global_load_dwordx2 v[89:90], v90, s[8:9] offset:192
	v_fma_f32 v41, v41, 2.0, -v154
	s_waitcnt lgkmcnt(0)
	; wave barrier
	s_waitcnt lgkmcnt(0)
	ds_write2_b32 v120, v41, v154 offset1:28
	s_waitcnt vmcnt(16)
	v_mul_f32_e32 v41, v72, v84
	v_fma_f32 v41, v23, v83, -v41
	s_movk_i32 s2, 0xe0
	v_mov_b32_e32 v154, 2
	v_sub_f32_e32 v41, v42, v41
	v_mul_u32_u24_sdwa v121, v121, s2 dst_sel:DWORD dst_unused:UNUSED_PAD src0_sel:BYTE_1 src1_sel:DWORD
	v_lshlrev_b32_sdwa v132, v154, v132 dst_sel:DWORD dst_unused:UNUSED_PAD src0_sel:DWORD src1_sel:BYTE_0
	v_fma_f32 v42, v42, 2.0, -v41
	v_add3_u32 v121, 0, v121, v132
	ds_write2_b32 v121, v42, v41 offset1:28
	v_mul_u32_u24_sdwa v41, v122, s2 dst_sel:DWORD dst_unused:UNUSED_PAD src0_sel:BYTE_1 src1_sel:DWORD
	v_lshlrev_b32_sdwa v42, v154, v133 dst_sel:DWORD dst_unused:UNUSED_PAD src0_sel:DWORD src1_sel:BYTE_0
	v_add3_u32 v122, 0, v41, v42
	s_waitcnt vmcnt(15)
	v_mul_f32_e32 v41, v69, v88
	v_fma_f32 v41, v20, v87, -v41
	v_sub_f32_e32 v41, v39, v41
	v_fma_f32 v39, v39, 2.0, -v41
	ds_write2_b32 v122, v39, v41 offset1:28
	s_waitcnt vmcnt(14)
	v_mul_f32_e32 v39, v70, v86
	v_fma_f32 v39, v21, v85, -v39
	v_sub_f32_e32 v39, v40, v39
	v_lshlrev_b32_sdwa v41, v154, v134 dst_sel:DWORD dst_unused:UNUSED_PAD src0_sel:DWORD src1_sel:BYTE_0
	v_mul_u32_u24_sdwa v42, v123, s2 dst_sel:DWORD dst_unused:UNUSED_PAD src0_sel:BYTE_1 src1_sel:DWORD
	v_fma_f32 v40, v40, 2.0, -v39
	v_add3_u32 v123, 0, v42, v41
	ds_write2_b32 v123, v40, v39 offset1:28
	v_mul_u32_u24_e32 v39, 0xe0, v124
	v_lshlrev_b32_e32 v40, 2, v135
	v_add3_u32 v124, 0, v39, v40
	s_waitcnt vmcnt(13)
	v_mul_f32_e32 v39, v67, v82
	v_fma_f32 v39, v18, v81, -v39
	v_sub_f32_e32 v39, v37, v39
	v_fma_f32 v37, v37, 2.0, -v39
	ds_write2_b32 v124, v37, v39 offset1:28
	s_waitcnt vmcnt(12)
	v_mul_f32_e32 v37, v68, v78
	v_fma_f32 v37, v19, v77, -v37
	v_sub_f32_e32 v37, v38, v37
	v_mul_u32_u24_e32 v39, 0xe0, v125
	v_lshlrev_b32_e32 v40, 2, v136
	v_fma_f32 v38, v38, 2.0, -v37
	v_add3_u32 v125, 0, v39, v40
	ds_write2_b32 v125, v38, v37 offset1:28
	v_mul_u32_u24_e32 v37, 0xe0, v126
	v_lshlrev_b32_e32 v38, 2, v137
	v_add3_u32 v126, 0, v37, v38
	s_waitcnt vmcnt(11)
	v_mul_f32_e32 v37, v65, v76
	v_fma_f32 v37, v16, v75, -v37
	v_sub_f32_e32 v37, v33, v37
	v_fma_f32 v33, v33, 2.0, -v37
	ds_write2_b32 v126, v33, v37 offset1:28
	s_waitcnt vmcnt(10)
	v_mul_f32_e32 v33, v66, v80
	v_fma_f32 v33, v17, v79, -v33
	v_sub_f32_e32 v33, v34, v33
	v_mul_u32_u24_e32 v37, 0xe0, v127
	v_lshlrev_b32_e32 v38, 2, v138
	v_fma_f32 v34, v34, 2.0, -v33
	v_add3_u32 v127, 0, v37, v38
	ds_write2_b32 v127, v34, v33 offset1:28
	v_mul_u32_u24_e32 v34, 0xe0, v128
	v_lshlrev_b32_e32 v37, 2, v139
	v_add3_u32 v128, 0, v34, v37
	v_mul_u32_u24_e32 v38, 0xe0, v129
	v_lshlrev_b32_e32 v39, 2, v140
	v_lshlrev_b32_e32 v40, 2, v141
	s_waitcnt vmcnt(9)
	v_mul_f32_e32 v33, v64, v96
	v_fma_f32 v33, v15, v95, -v33
	v_sub_f32_e32 v33, v30, v33
	s_waitcnt vmcnt(6)
	v_mul_f32_e32 v34, v63, v108
	v_fma_f32 v34, v14, v107, -v34
	v_sub_f32_e32 v34, v117, v34
	v_fma_f32 v37, v117, 2.0, -v34
	ds_write2_b32 v128, v37, v34 offset1:28
	v_mul_f32_e32 v34, v61, v94
	v_fma_f32 v34, v12, v93, -v34
	v_add3_u32 v117, 0, v38, v39
	v_mul_u32_u24_e32 v39, 0xe0, v130
	v_mul_f32_e32 v37, v62, v92
	v_sub_f32_e32 v34, v31, v34
	v_add3_u32 v129, 0, v39, v40
	s_waitcnt vmcnt(2)
	v_mul_f32_e32 v39, v58, v98
	v_fma_f32 v37, v13, v91, -v37
	v_fma_f32 v30, v30, 2.0, -v33
	v_fma_f32 v31, v31, 2.0, -v34
	v_fma_f32 v39, v9, v97, -v39
	ds_write2_b32 v117, v30, v33 offset1:28
	v_mul_f32_e32 v30, v59, v106
	v_sub_f32_e32 v37, v28, v37
	ds_write2_b32 v129, v31, v34 offset1:28
	v_sub_f32_e32 v34, v24, v39
	v_mul_u32_u24_e32 v39, 0xe0, v131
	v_lshlrev_b32_e32 v40, 2, v142
	v_fma_f32 v30, v10, v105, -v30
	v_fma_f32 v28, v28, 2.0, -v37
	v_add3_u32 v130, 0, v39, v40
	v_mul_f32_e32 v33, v60, v104
	v_sub_f32_e32 v30, v29, v30
	ds_write2_b32 v130, v28, v37 offset1:28
	v_mul_u32_u24_e32 v28, 0xe0, v143
	v_lshlrev_b32_e32 v37, 2, v144
	v_fma_f32 v33, v11, v103, -v33
	v_fma_f32 v29, v29, 2.0, -v30
	v_add3_u32 v131, 0, v28, v37
	v_mul_f32_e32 v38, v57, v102
	v_sub_f32_e32 v33, v26, v33
	ds_write2_b32 v131, v29, v30 offset1:28
	v_mul_u32_u24_e32 v28, 0xe0, v145
	v_lshlrev_b32_e32 v29, 2, v146
	v_fma_f32 v38, v8, v101, -v38
	v_fma_f32 v26, v26, 2.0, -v33
	v_add3_u32 v133, 0, v28, v29
	v_sub_f32_e32 v38, v27, v38
	ds_write2_b32 v133, v26, v33 offset1:28
	v_mul_u32_u24_e32 v26, 0xe0, v147
	v_lshlrev_b32_e32 v28, 2, v148
	v_fma_f32 v27, v27, 2.0, -v38
	v_add3_u32 v134, 0, v26, v28
	s_waitcnt vmcnt(1)
	v_mul_f32_e32 v31, v119, v100
	ds_write2_b32 v134, v27, v38 offset1:28
	v_mul_u32_u24_e32 v26, 0xe0, v149
	v_lshlrev_b32_e32 v27, 2, v150
	v_fma_f32 v31, v116, v99, -v31
	v_fma_f32 v24, v24, 2.0, -v34
	v_add3_u32 v135, 0, v26, v27
	v_sub_f32_e32 v31, v25, v31
	ds_write2_b32 v135, v24, v34 offset1:28
	v_mul_u32_u24_e32 v24, 0xe0, v152
	v_lshlrev_b32_e32 v26, 2, v153
	v_fma_f32 v25, v25, 2.0, -v31
	v_add3_u32 v136, 0, v24, v26
	v_lshl_add_u32 v132, v151, 2, 0
	ds_write2_b32 v136, v25, v31 offset1:28
	s_and_saveexec_b64 s[2:3], vcc
	s_cbranch_execz .LBB0_25
; %bb.24:
	s_waitcnt vmcnt(0)
	v_mul_f32_e32 v24, v7, v90
	v_fma_f32 v24, v5, v89, -v24
	v_sub_f32_e32 v24, v6, v24
	v_fma_f32 v6, v6, 2.0, -v24
	v_add_u32_e32 v25, 0x1c00, v132
	ds_write2_b32 v25, v6, v24 offset0:112 offset1:140
.LBB0_25:
	s_or_b64 exec, exec, s[2:3]
	v_mul_f32_e32 v6, v22, v74
	v_mul_f32_e32 v22, v23, v84
	;; [unrolled: 1-line block ×8, first 2 shown]
	v_fmac_f32_e32 v22, v72, v83
	v_fmac_f32_e32 v20, v69, v87
	v_mul_f32_e32 v14, v14, v108
	v_fmac_f32_e32 v15, v64, v95
	v_fmac_f32_e32 v12, v61, v93
	;; [unrolled: 1-line block ×4, first 2 shown]
	v_mul_f32_e32 v11, v11, v104
	v_fmac_f32_e32 v8, v57, v101
	v_mul_f32_e32 v9, v9, v98
	v_mul_f32_e32 v23, v116, v100
	;; [unrolled: 1-line block ×7, first 2 shown]
	v_fmac_f32_e32 v14, v63, v107
	v_fmac_f32_e32 v11, v60, v103
	v_fmac_f32_e32 v9, v58, v97
	v_fmac_f32_e32 v23, v119, v99
	v_sub_f32_e32 v58, v56, v22
	v_sub_f32_e32 v60, v51, v20
	v_sub_f32_e32 v72, v45, v15
	v_sub_f32_e32 v12, v46, v12
	v_sub_f32_e32 v13, v47, v13
	v_sub_f32_e32 v76, v48, v10
	v_sub_f32_e32 v80, v44, v8
	v_fmac_f32_e32 v6, v71, v73
	v_fmac_f32_e32 v21, v70, v85
	;; [unrolled: 1-line block ×6, first 2 shown]
	v_fma_f32 v59, v56, 2.0, -v58
	v_fma_f32 v61, v51, 2.0, -v60
	v_sub_f32_e32 v70, v32, v14
	v_fma_f32 v73, v45, 2.0, -v72
	v_fma_f32 v74, v46, 2.0, -v12
	v_fma_f32 v75, v47, 2.0, -v13
	v_fma_f32 v77, v48, 2.0, -v76
	v_sub_f32_e32 v78, v43, v11
	v_fma_f32 v81, v44, 2.0, -v80
	v_sub_f32_e32 v82, v35, v9
	v_sub_f32_e32 v84, v36, v23
	v_add_u32_e32 v46, 0x200, v1
	v_add_u32_e32 v45, 0x800, v1
	;; [unrolled: 1-line block ×7, first 2 shown]
	v_sub_f32_e32 v63, v53, v18
	v_sub_f32_e32 v65, v54, v19
	;; [unrolled: 1-line block ×4, first 2 shown]
	v_fma_f32 v71, v32, 2.0, -v70
	v_fma_f32 v79, v43, 2.0, -v78
	;; [unrolled: 1-line block ×4, first 2 shown]
	s_waitcnt lgkmcnt(0)
	; wave barrier
	s_waitcnt lgkmcnt(0)
	ds_read2_b32 v[14:15], v1 offset1:56
	ds_read2_b32 v[8:9], v46 offset0:96 offset1:152
	ds_read2_b32 v[42:43], v45 offset0:48 offset1:104
	;; [unrolled: 1-line block ×11, first 2 shown]
	v_fma_f32 v66, v54, 2.0, -v65
	v_fma_f32 v68, v49, 2.0, -v67
	v_add_u32_e32 v49, 0x1200, v1
	v_add_u32_e32 v57, 0x1c00, v1
	;; [unrolled: 1-line block ×3, first 2 shown]
	v_sub_f32_e32 v62, v52, v21
	v_fma_f32 v64, v53, 2.0, -v63
	ds_read2_b32 v[28:29], v49 offset0:80 offset1:136
	ds_read2_b32 v[26:27], v57 offset1:56
	ds_read2_b32 v[24:25], v51 offset0:192 offset1:248
	ds_read2_b32 v[22:23], v54 offset0:112 offset1:168
	;; [unrolled: 1-line block ×3, first 2 shown]
	ds_read_b32 v53, v1 offset:7616
	v_sub_f32_e32 v6, v55, v6
	v_fma_f32 v55, v55, 2.0, -v6
	v_fma_f32 v52, v52, 2.0, -v62
	;; [unrolled: 1-line block ×3, first 2 shown]
	s_waitcnt lgkmcnt(0)
	; wave barrier
	s_waitcnt lgkmcnt(0)
	ds_write2_b32 v120, v55, v6 offset1:28
	ds_write2_b32 v121, v59, v58 offset1:28
	;; [unrolled: 1-line block ×17, first 2 shown]
	s_and_saveexec_b64 s[2:3], vcc
	s_cbranch_execz .LBB0_27
; %bb.26:
	s_waitcnt vmcnt(0)
	v_mul_f32_e32 v5, v5, v90
	v_fmac_f32_e32 v5, v7, v89
	v_sub_f32_e32 v5, v118, v5
	v_fma_f32 v6, v118, 2.0, -v5
	v_add_u32_e32 v7, 0x1c00, v132
	ds_write2_b32 v7, v6, v5 offset0:112 offset1:140
.LBB0_27:
	s_or_b64 exec, exec, s[2:3]
	v_lshrrev_b16_e32 v7, 3, v112
	v_and_b32_e32 v7, 31, v7
	v_mov_b32_e32 v50, 56
	v_mul_lo_u16_e32 v7, 37, v7
	v_mul_lo_u16_sdwa v7, v7, v50 dst_sel:DWORD dst_unused:UNUSED_PAD src0_sel:BYTE_1 src1_sel:DWORD
	v_sub_u16_e32 v7, v112, v7
	v_and_b32_e32 v7, 0xff, v7
	v_mul_u32_u24_e32 v5, 6, v0
	v_mul_u32_u24_e32 v12, 6, v7
	v_lshlrev_b32_e32 v5, 3, v5
	v_lshlrev_b32_e32 v52, 3, v12
	s_waitcnt lgkmcnt(0)
	; wave barrier
	s_waitcnt lgkmcnt(0)
	global_load_dwordx4 v[58:61], v5, s[8:9] offset:416
	global_load_dwordx4 v[62:65], v5, s[8:9] offset:432
	;; [unrolled: 1-line block ×3, first 2 shown]
	ds_read2_b32 v[106:107], v1 offset1:56
	ds_read2_b32 v[5:6], v46 offset0:96 offset1:152
	ds_read2_b32 v[116:117], v45 offset0:48 offset1:104
	;; [unrolled: 1-line block ×8, first 2 shown]
	global_load_dwordx4 v[70:73], v52, s[8:9] offset:416
	ds_read2_b32 v[130:131], v56 offset0:176 offset1:232
	ds_read2_b32 v[12:13], v1 offset0:112 offset1:168
	;; [unrolled: 1-line block ×4, first 2 shown]
	ds_read2_b32 v[136:137], v57 offset1:56
	ds_read2_b32 v[138:139], v51 offset0:192 offset1:248
	global_load_dwordx4 v[74:77], v52, s[8:9] offset:448
	global_load_dwordx4 v[78:81], v52, s[8:9] offset:432
	v_lshrrev_b16_e32 v52, 3, v113
	v_lshrrev_b16_e32 v82, 3, v110
	v_and_b32_e32 v52, 31, v52
	v_mul_u32_u24_e32 v82, 0x2493, v82
	v_mul_lo_u16_e32 v52, 37, v52
	s_waitcnt vmcnt(6)
	v_mul_lo_u16_sdwa v90, v82, v50 dst_sel:DWORD dst_unused:UNUSED_PAD src0_sel:WORD_1 src1_sel:DWORD
	v_mul_lo_u16_sdwa v50, v52, v50 dst_sel:DWORD dst_unused:UNUSED_PAD src0_sel:BYTE_1 src1_sel:DWORD
	v_sub_u16_e32 v50, v113, v50
	v_and_b32_e32 v52, 0xff, v50
	v_mul_u32_u24_e32 v50, 6, v52
	v_lshlrev_b32_e32 v98, 3, v50
	v_sub_u16_e32 v50, v110, v90
	ds_read2_b32 v[140:141], v54 offset0:112 offset1:168
	ds_read2_b32 v[142:143], v48 offset0:32 offset1:88
	ds_read_b32 v55, v1 offset:7616
	global_load_dwordx4 v[82:85], v98, s[8:9] offset:432
	global_load_dwordx4 v[86:89], v98, s[8:9] offset:416
	v_mul_u32_u24_e32 v90, 6, v50
	v_lshlrev_b32_e32 v102, 3, v90
	global_load_dwordx4 v[90:93], v102, s[8:9] offset:448
	global_load_dwordx4 v[94:97], v102, s[8:9] offset:432
	s_nop 0
	global_load_dwordx4 v[98:101], v98, s[8:9] offset:448
	s_nop 0
	global_load_dwordx4 v[102:105], v102, s[8:9] offset:416
	s_mov_b32 s2, 0x3f5ff5aa
	s_mov_b32 s4, 0x3f3bfb3b
	;; [unrolled: 1-line block ×4, first 2 shown]
	s_waitcnt lgkmcnt(0)
	; wave barrier
	s_waitcnt vmcnt(11) lgkmcnt(0)
	v_mul_f32_e32 v144, v9, v59
	v_mul_f32_e32 v145, v116, v61
	;; [unrolled: 1-line block ×4, first 2 shown]
	v_fmac_f32_e32 v144, v6, v58
	v_fma_f32 v6, v42, v60, -v145
	v_mul_f32_e32 v42, v117, v61
	v_fma_f32 v42, v43, v60, -v42
	v_mul_f32_e32 v43, v43, v61
	s_waitcnt vmcnt(9)
	v_mul_f32_e32 v61, v130, v67
	v_mul_f32_e32 v151, v123, v67
	;; [unrolled: 1-line block ×5, first 2 shown]
	v_fmac_f32_e32 v146, v116, v60
	v_fmac_f32_e32 v43, v117, v60
	v_mul_f32_e32 v60, v121, v65
	v_fma_f32 v61, v32, v66, -v61
	v_mul_f32_e32 v32, v32, v67
	v_mul_f32_e32 v149, v120, v65
	;; [unrolled: 1-line block ×3, first 2 shown]
	v_fma_f32 v9, v9, v58, -v108
	v_fma_f32 v17, v17, v66, -v151
	v_fmac_f32_e32 v152, v123, v66
	v_fma_f32 v36, v36, v58, -v155
	v_fmac_f32_e32 v59, v126, v58
	v_mul_f32_e32 v58, v128, v63
	v_fma_f32 v60, v41, v64, -v60
	v_mul_f32_e32 v41, v41, v65
	v_fmac_f32_e32 v32, v130, v66
	s_waitcnt vmcnt(6)
	v_mul_f32_e32 v66, v134, v81
	v_mul_f32_e32 v147, v119, v63
	;; [unrolled: 1-line block ×3, first 2 shown]
	v_fma_f32 v40, v40, v64, -v149
	v_fmac_f32_e32 v150, v120, v64
	v_fma_f32 v58, v34, v62, -v58
	v_mul_f32_e32 v34, v34, v63
	v_fmac_f32_e32 v41, v121, v64
	v_mul_f32_e32 v63, v127, v71
	v_mul_f32_e32 v64, v132, v73
	v_fma_f32 v66, v28, v80, -v66
	v_mul_f32_e32 v28, v28, v81
	v_mul_f32_e32 v153, v124, v69
	v_fma_f32 v19, v19, v62, -v147
	v_fmac_f32_e32 v148, v119, v62
	v_fmac_f32_e32 v34, v128, v62
	v_mul_f32_e32 v62, v125, v69
	v_fma_f32 v63, v37, v70, -v63
	v_mul_f32_e32 v37, v37, v71
	v_fma_f32 v64, v30, v72, -v64
	v_mul_f32_e32 v30, v30, v73
	v_fmac_f32_e32 v28, v134, v80
	s_waitcnt vmcnt(5)
	v_mul_f32_e32 v71, v140, v83
	s_waitcnt vmcnt(3)
	v_mul_f32_e32 v80, v55, v93
	v_mul_f32_e32 v154, v38, v69
	v_fma_f32 v38, v38, v68, -v153
	v_fma_f32 v62, v39, v68, -v62
	v_mul_f32_e32 v39, v39, v69
	v_fmac_f32_e32 v30, v132, v72
	v_mul_f32_e32 v69, v138, v87
	v_fma_f32 v71, v22, v82, -v71
	v_mul_f32_e32 v22, v22, v83
	v_mul_f32_e32 v72, v135, v85
	v_fma_f32 v80, v53, v92, -v80
	v_mul_f32_e32 v53, v53, v93
	v_fmac_f32_e32 v154, v124, v68
	v_fmac_f32_e32 v37, v127, v70
	v_fma_f32 v69, v24, v86, -v69
	v_mul_f32_e32 v24, v24, v87
	v_mul_f32_e32 v70, v133, v89
	v_fmac_f32_e32 v22, v140, v82
	v_fma_f32 v72, v29, v84, -v72
	v_mul_f32_e32 v29, v29, v85
	v_fmac_f32_e32 v53, v55, v92
	v_add_f32_e32 v55, v9, v38
	v_add_f32_e32 v82, v6, v17
	v_mul_f32_e32 v65, v129, v79
	v_fmac_f32_e32 v24, v138, v86
	v_fma_f32 v70, v31, v88, -v70
	v_mul_f32_e32 v31, v31, v89
	v_fmac_f32_e32 v29, v135, v84
	v_add_f32_e32 v81, v144, v154
	v_add_f32_e32 v83, v146, v152
	;; [unrolled: 1-line block ×4, first 2 shown]
	v_fmac_f32_e32 v39, v125, v68
	v_fma_f32 v65, v35, v78, -v65
	v_mul_f32_e32 v35, v35, v79
	v_mul_f32_e32 v68, v136, v77
	v_fmac_f32_e32 v31, v133, v88
	v_mul_f32_e32 v79, v143, v91
	v_add_f32_e32 v85, v148, v150
	v_add_f32_e32 v87, v83, v81
	v_sub_f32_e32 v88, v82, v55
	v_sub_f32_e32 v55, v55, v84
	;; [unrolled: 1-line block ×3, first 2 shown]
	v_add_f32_e32 v84, v84, v86
	v_fma_f32 v68, v26, v76, -v68
	v_mul_f32_e32 v26, v26, v77
	s_waitcnt vmcnt(2)
	v_mul_f32_e32 v77, v141, v95
	v_fma_f32 v79, v21, v90, -v79
	v_mul_f32_e32 v21, v21, v91
	v_sub_f32_e32 v9, v9, v38
	v_sub_f32_e32 v6, v6, v17
	;; [unrolled: 1-line block ×8, first 2 shown]
	v_add_f32_e32 v85, v85, v87
	v_add_f32_e32 v14, v14, v84
	v_fma_f32 v77, v23, v94, -v77
	v_mul_f32_e32 v23, v23, v95
	v_fmac_f32_e32 v21, v143, v90
	v_sub_f32_e32 v38, v144, v154
	v_add_f32_e32 v90, v19, v6
	v_add_f32_e32 v91, v40, v17
	v_sub_f32_e32 v92, v19, v6
	v_sub_f32_e32 v93, v40, v17
	;; [unrolled: 1-line block ×3, first 2 shown]
	v_add_f32_e32 v86, v106, v85
	v_mov_b32_e32 v95, v14
	v_sub_f32_e32 v19, v9, v19
	v_sub_f32_e32 v40, v38, v40
	v_sub_f32_e32 v17, v17, v38
	v_add_f32_e32 v38, v91, v38
	v_mul_f32_e32 v55, 0x3f4a47b2, v55
	v_mul_f32_e32 v81, 0x3f4a47b2, v81
	;; [unrolled: 1-line block ×6, first 2 shown]
	v_fmac_f32_e32 v95, 0xbf955555, v84
	v_mov_b32_e32 v84, v86
	v_fmac_f32_e32 v23, v141, v94
	v_add_f32_e32 v9, v90, v9
	v_mul_f32_e32 v90, 0x3d64c772, v83
	v_mul_f32_e32 v94, 0x3f5ff5aa, v17
	v_fmac_f32_e32 v84, 0xbf955555, v85
	v_fma_f32 v85, v88, s4, -v87
	v_fma_f32 v88, v88, s3, -v55
	v_fmac_f32_e32 v55, 0x3d64c772, v82
	v_fma_f32 v82, v89, s3, -v81
	v_fma_f32 v6, v6, s2, -v91
	v_fmac_f32_e32 v91, 0x3eae86e6, v19
	v_fma_f32 v17, v17, s2, -v92
	v_fmac_f32_e32 v92, 0x3eae86e6, v40
	v_fma_f32 v19, v19, s5, -v93
	v_fma_f32 v87, v89, s4, -v90
	v_fmac_f32_e32 v81, 0x3d64c772, v83
	v_add_f32_e32 v55, v55, v95
	v_add_f32_e32 v83, v85, v95
	;; [unrolled: 1-line block ×3, first 2 shown]
	v_fmac_f32_e32 v92, 0x3ee1c552, v38
	v_fmac_f32_e32 v17, 0x3ee1c552, v38
	;; [unrolled: 1-line block ×3, first 2 shown]
	v_add_f32_e32 v85, v87, v84
	v_add_f32_e32 v87, v88, v95
	v_fmac_f32_e32 v91, 0x3ee1c552, v9
	v_fmac_f32_e32 v6, 0x3ee1c552, v9
	v_add_f32_e32 v9, v92, v55
	v_sub_f32_e32 v88, v82, v19
	v_sub_f32_e32 v89, v83, v17
	v_add_f32_e32 v17, v17, v83
	v_add_f32_e32 v82, v19, v82
	v_sub_f32_e32 v19, v55, v92
	v_add_f32_e32 v55, v36, v62
	v_add_f32_e32 v83, v59, v39
	v_sub_f32_e32 v39, v59, v39
	v_add_f32_e32 v59, v42, v61
	v_sub_f32_e32 v36, v36, v62
	;; [unrolled: 2-line block ×3, first 2 shown]
	v_sub_f32_e32 v32, v43, v32
	v_add_f32_e32 v43, v58, v60
	v_add_f32_e32 v61, v34, v41
	v_sub_f32_e32 v34, v41, v34
	v_add_f32_e32 v41, v59, v55
	v_fmac_f32_e32 v35, v129, v78
	v_mul_f32_e32 v78, v122, v97
	v_fma_f32 v40, v40, s5, -v94
	v_sub_f32_e32 v58, v60, v58
	v_add_f32_e32 v60, v62, v83
	v_add_f32_e32 v41, v43, v41
	v_fma_f32 v78, v16, v96, -v78
	v_mul_f32_e32 v16, v16, v97
	v_add_f32_e32 v81, v81, v84
	v_fmac_f32_e32 v40, 0x3ee1c552, v38
	v_add_f32_e32 v90, v6, v85
	v_sub_f32_e32 v6, v85, v6
	v_sub_f32_e32 v85, v59, v55
	;; [unrolled: 1-line block ×4, first 2 shown]
	v_add_f32_e32 v43, v61, v60
	v_add_f32_e32 v15, v15, v41
	v_fmac_f32_e32 v16, v122, v96
	v_sub_f32_e32 v84, v81, v91
	v_add_f32_e32 v38, v40, v87
	v_sub_f32_e32 v40, v87, v40
	v_add_f32_e32 v81, v91, v81
	v_sub_f32_e32 v87, v62, v83
	v_sub_f32_e32 v83, v83, v61
	;; [unrolled: 1-line block ×3, first 2 shown]
	v_add_f32_e32 v91, v58, v42
	v_add_f32_e32 v92, v34, v32
	v_sub_f32_e32 v93, v58, v42
	v_sub_f32_e32 v94, v34, v32
	;; [unrolled: 1-line block ×3, first 2 shown]
	v_add_f32_e32 v60, v107, v43
	v_mov_b32_e32 v96, v15
	v_sub_f32_e32 v58, v36, v58
	v_sub_f32_e32 v34, v39, v34
	;; [unrolled: 1-line block ×3, first 2 shown]
	v_add_f32_e32 v36, v91, v36
	v_add_f32_e32 v39, v92, v39
	v_mul_f32_e32 v55, 0x3f4a47b2, v55
	v_mul_f32_e32 v61, 0x3f4a47b2, v83
	;; [unrolled: 1-line block ×7, first 2 shown]
	v_fmac_f32_e32 v96, 0xbf955555, v41
	v_mov_b32_e32 v41, v60
	v_mul_f32_e32 v67, v131, v75
	v_mul_f32_e32 v95, 0x3f5ff5aa, v32
	v_fmac_f32_e32 v41, 0xbf955555, v43
	v_fma_f32 v43, v85, s4, -v83
	v_fma_f32 v83, v87, s4, -v91
	;; [unrolled: 1-line block ×3, first 2 shown]
	v_fmac_f32_e32 v55, 0x3d64c772, v59
	v_fma_f32 v59, v87, s3, -v61
	v_fmac_f32_e32 v61, 0x3d64c772, v62
	v_fma_f32 v42, v42, s2, -v92
	;; [unrolled: 2-line block ×4, first 2 shown]
	v_fma_f32 v67, v33, v74, -v67
	v_mul_f32_e32 v33, v33, v75
	v_fmac_f32_e32 v26, v136, v76
	v_fma_f32 v34, v34, s5, -v95
	v_add_f32_e32 v55, v55, v96
	v_add_f32_e32 v61, v61, v41
	;; [unrolled: 1-line block ×5, first 2 shown]
	v_fmac_f32_e32 v92, 0x3ee1c552, v36
	v_fmac_f32_e32 v93, 0x3ee1c552, v39
	;; [unrolled: 1-line block ×5, first 2 shown]
	v_add_f32_e32 v83, v85, v96
	v_fmac_f32_e32 v42, 0x3ee1c552, v36
	v_fmac_f32_e32 v34, 0x3ee1c552, v39
	v_add_f32_e32 v36, v93, v55
	v_sub_f32_e32 v39, v61, v92
	v_sub_f32_e32 v85, v41, v58
	;; [unrolled: 1-line block ×3, first 2 shown]
	v_add_f32_e32 v32, v32, v43
	v_add_f32_e32 v41, v58, v41
	v_sub_f32_e32 v43, v55, v93
	v_add_f32_e32 v58, v92, v61
	v_add_f32_e32 v55, v63, v68
	;; [unrolled: 1-line block ×3, first 2 shown]
	v_sub_f32_e32 v26, v37, v26
	v_add_f32_e32 v37, v64, v67
	v_add_f32_e32 v91, v42, v62
	v_sub_f32_e32 v42, v62, v42
	v_sub_f32_e32 v62, v63, v68
	v_add_f32_e32 v63, v30, v33
	v_sub_f32_e32 v64, v64, v67
	v_sub_f32_e32 v30, v30, v33
	v_add_f32_e32 v33, v65, v66
	v_add_f32_e32 v67, v35, v28
	v_sub_f32_e32 v28, v28, v35
	v_add_f32_e32 v35, v37, v55
	v_sub_f32_e32 v65, v66, v65
	v_add_f32_e32 v66, v63, v61
	v_sub_f32_e32 v68, v37, v55
	v_sub_f32_e32 v55, v55, v33
	v_sub_f32_e32 v37, v33, v37
	v_add_f32_e32 v33, v33, v35
	v_add_f32_e32 v35, v67, v66
	;; [unrolled: 1-line block ×4, first 2 shown]
	v_sub_f32_e32 v34, v83, v34
	v_sub_f32_e32 v83, v63, v61
	;; [unrolled: 1-line block ×4, first 2 shown]
	v_add_f32_e32 v92, v65, v64
	v_add_f32_e32 v93, v28, v30
	v_sub_f32_e32 v94, v65, v64
	v_sub_f32_e32 v95, v28, v30
	;; [unrolled: 1-line block ×4, first 2 shown]
	v_add_f32_e32 v12, v12, v35
	v_mov_b32_e32 v96, v10
	s_waitcnt vmcnt(1)
	v_mul_f32_e32 v74, v137, v101
	v_sub_f32_e32 v65, v62, v65
	v_sub_f32_e32 v28, v26, v28
	v_add_f32_e32 v62, v92, v62
	v_add_f32_e32 v26, v93, v26
	v_mul_f32_e32 v55, 0x3f4a47b2, v55
	v_mul_f32_e32 v61, 0x3f4a47b2, v61
	;; [unrolled: 1-line block ×8, first 2 shown]
	v_fmac_f32_e32 v96, 0xbf955555, v33
	v_mov_b32_e32 v33, v12
	v_mul_f32_e32 v73, v142, v99
	v_fma_f32 v74, v27, v100, -v74
	v_mul_f32_e32 v27, v27, v101
	v_fmac_f32_e32 v33, 0xbf955555, v35
	v_fma_f32 v35, v68, s4, -v66
	v_fma_f32 v66, v83, s4, -v67
	;; [unrolled: 1-line block ×3, first 2 shown]
	v_fmac_f32_e32 v55, 0x3d64c772, v37
	v_fma_f32 v37, v83, s3, -v61
	v_fmac_f32_e32 v61, 0x3d64c772, v63
	v_fma_f32 v63, v64, s2, -v92
	v_fma_f32 v30, v30, s2, -v93
	v_fmac_f32_e32 v93, 0x3eae86e6, v28
	v_fma_f32 v64, v65, s5, -v94
	v_fma_f32 v28, v28, s5, -v95
	;; [unrolled: 1-line block ×3, first 2 shown]
	v_mul_f32_e32 v20, v20, v99
	v_fmac_f32_e32 v27, v137, v100
	v_fmac_f32_e32 v92, 0x3eae86e6, v65
	v_add_f32_e32 v55, v55, v96
	v_add_f32_e32 v61, v61, v33
	;; [unrolled: 1-line block ×6, first 2 shown]
	v_fmac_f32_e32 v93, 0x3ee1c552, v26
	v_fmac_f32_e32 v30, 0x3ee1c552, v26
	;; [unrolled: 1-line block ×7, first 2 shown]
	v_add_f32_e32 v26, v93, v55
	v_add_f32_e32 v37, v28, v66
	v_sub_f32_e32 v68, v33, v64
	v_sub_f32_e32 v62, v35, v30
	v_add_f32_e32 v30, v30, v35
	v_sub_f32_e32 v28, v66, v28
	v_add_f32_e32 v66, v64, v33
	;; [unrolled: 2-line block ×3, first 2 shown]
	v_add_f32_e32 v55, v24, v27
	v_sub_f32_e32 v24, v24, v27
	v_add_f32_e32 v27, v70, v73
	v_sub_f32_e32 v67, v61, v92
	;; [unrolled: 2-line block ×5, first 2 shown]
	v_add_f32_e32 v31, v71, v72
	v_add_f32_e32 v69, v22, v29
	v_sub_f32_e32 v22, v29, v22
	v_add_f32_e32 v29, v27, v35
	v_sub_f32_e32 v64, v70, v73
	v_sub_f32_e32 v70, v72, v71
	v_add_f32_e32 v71, v63, v55
	v_add_f32_e32 v29, v31, v29
	v_sub_f32_e32 v72, v27, v35
	v_sub_f32_e32 v35, v35, v31
	v_sub_f32_e32 v27, v31, v27
	v_add_f32_e32 v31, v69, v71
	v_add_f32_e32 v11, v11, v29
	v_sub_f32_e32 v73, v63, v55
	;; [unrolled: 5-line block ×3, first 2 shown]
	v_sub_f32_e32 v95, v22, v20
	v_sub_f32_e32 v64, v64, v61
	;; [unrolled: 1-line block ×3, first 2 shown]
	v_add_f32_e32 v13, v13, v31
	v_mov_b32_e32 v96, v11
	s_waitcnt vmcnt(0)
	v_mul_f32_e32 v75, v139, v103
	v_sub_f32_e32 v70, v61, v70
	v_sub_f32_e32 v22, v24, v22
	v_add_f32_e32 v61, v74, v61
	v_add_f32_e32 v24, v93, v24
	v_mul_f32_e32 v35, 0x3f4a47b2, v35
	v_mul_f32_e32 v55, 0x3f4a47b2, v55
	;; [unrolled: 1-line block ×8, first 2 shown]
	v_fmac_f32_e32 v96, 0xbf955555, v29
	v_mov_b32_e32 v29, v13
	v_fma_f32 v75, v25, v102, -v75
	v_mul_f32_e32 v25, v25, v103
	v_mul_f32_e32 v76, v118, v105
	v_fmac_f32_e32 v29, 0xbf955555, v31
	v_fma_f32 v31, v72, s4, -v69
	v_fma_f32 v69, v73, s4, -v71
	;; [unrolled: 1-line block ×3, first 2 shown]
	v_fmac_f32_e32 v35, 0x3d64c772, v27
	v_fma_f32 v27, v73, s3, -v55
	v_fmac_f32_e32 v55, 0x3d64c772, v63
	v_fma_f32 v63, v64, s2, -v74
	;; [unrolled: 2-line block ×4, first 2 shown]
	v_fma_f32 v22, v22, s5, -v95
	v_fmac_f32_e32 v25, v139, v102
	v_fma_f32 v76, v18, v104, -v76
	v_mul_f32_e32 v18, v18, v105
	v_add_f32_e32 v35, v35, v96
	v_add_f32_e32 v55, v55, v29
	;; [unrolled: 1-line block ×6, first 2 shown]
	v_fmac_f32_e32 v74, 0x3ee1c552, v61
	v_fmac_f32_e32 v93, 0x3ee1c552, v24
	;; [unrolled: 1-line block ×7, first 2 shown]
	v_add_f32_e32 v24, v93, v35
	v_sub_f32_e32 v71, v55, v74
	v_add_f32_e32 v29, v22, v70
	v_sub_f32_e32 v72, v27, v64
	v_sub_f32_e32 v61, v31, v20
	v_add_f32_e32 v73, v63, v69
	v_add_f32_e32 v20, v20, v31
	v_sub_f32_e32 v31, v69, v63
	v_sub_f32_e32 v22, v70, v22
	v_add_f32_e32 v69, v64, v27
	v_sub_f32_e32 v27, v35, v93
	v_add_f32_e32 v70, v74, v55
	v_add_f32_e32 v35, v75, v80
	;; [unrolled: 1-line block ×3, first 2 shown]
	v_sub_f32_e32 v25, v25, v53
	v_add_f32_e32 v53, v76, v79
	v_sub_f32_e32 v63, v75, v80
	v_add_f32_e32 v64, v18, v21
	v_sub_f32_e32 v18, v18, v21
	v_add_f32_e32 v21, v77, v78
	v_add_f32_e32 v75, v23, v16
	v_sub_f32_e32 v16, v16, v23
	v_add_f32_e32 v23, v53, v35
	v_sub_f32_e32 v74, v76, v79
	v_sub_f32_e32 v76, v78, v77
	v_add_f32_e32 v77, v64, v55
	v_sub_f32_e32 v78, v53, v35
	v_sub_f32_e32 v35, v35, v21
	;; [unrolled: 1-line block ×3, first 2 shown]
	v_add_f32_e32 v21, v21, v23
	v_add_f32_e32 v23, v75, v77
	v_add_f32_e32 v8, v8, v21
	ds_write2_b32 v1, v14, v9 offset1:56
	ds_write2_b32 v1, v38, v89 offset0:112 offset1:168
	ds_write2_b32 v46, v17, v40 offset0:96 offset1:152
	;; [unrolled: 1-line block ×3, first 2 shown]
	ds_write_b32 v115, v36
	v_add_u32_e32 v14, 0x600, v1
	v_lshl_add_u32 v15, v7, 2, 0
	v_sub_f32_e32 v79, v64, v55
	v_sub_f32_e32 v55, v55, v75
	;; [unrolled: 1-line block ×3, first 2 shown]
	v_add_f32_e32 v80, v76, v74
	v_add_f32_e32 v93, v16, v18
	v_sub_f32_e32 v94, v76, v74
	v_sub_f32_e32 v95, v16, v18
	;; [unrolled: 1-line block ×4, first 2 shown]
	v_add_f32_e32 v5, v5, v23
	v_mov_b32_e32 v96, v8
	ds_write2_b32 v14, v59, v87 offset0:120 offset1:176
	ds_write2_b32 v45, v32, v34 offset0:104 offset1:160
	ds_write_b32 v1, v43 offset:2912
	v_add_u32_e32 v34, 0xc00, v15
	v_sub_f32_e32 v76, v63, v76
	v_sub_f32_e32 v16, v25, v16
	v_add_f32_e32 v63, v80, v63
	v_add_f32_e32 v25, v93, v25
	v_mul_f32_e32 v35, 0x3f4a47b2, v35
	v_mul_f32_e32 v55, 0x3f4a47b2, v55
	;; [unrolled: 1-line block ×8, first 2 shown]
	v_fmac_f32_e32 v96, 0xbf955555, v21
	v_mov_b32_e32 v21, v5
	ds_write2_b32 v34, v10, v26 offset0:16 offset1:72
	ds_write2_b32 v34, v37, v62 offset0:128 offset1:184
	v_add_u32_e32 v10, 0xe00, v15
	v_fmac_f32_e32 v21, 0xbf955555, v23
	v_fma_f32 v23, v78, s4, -v75
	v_fma_f32 v75, v79, s4, -v77
	v_fma_f32 v77, v78, s3, -v35
	v_fmac_f32_e32 v35, 0x3d64c772, v53
	v_fma_f32 v53, v79, s3, -v55
	v_fmac_f32_e32 v55, 0x3d64c772, v64
	v_fma_f32 v64, v74, s2, -v80
	;; [unrolled: 2-line block ×4, first 2 shown]
	v_fma_f32 v16, v16, s5, -v95
	ds_write2_b32 v10, v30, v28 offset0:112 offset1:168
	ds_write_b32 v15, v33 offset:4480
	v_lshl_add_u32 v30, v52, 2, 0
	v_add_f32_e32 v35, v35, v96
	v_add_f32_e32 v55, v55, v21
	;; [unrolled: 1-line block ×6, first 2 shown]
	v_fmac_f32_e32 v80, 0x3ee1c552, v63
	v_fmac_f32_e32 v93, 0x3ee1c552, v25
	;; [unrolled: 1-line block ×5, first 2 shown]
	v_add_u32_e32 v40, 0x1000, v30
	v_lshl_add_u32 v59, v50, 2, 0
	v_fmac_f32_e32 v64, 0x3ee1c552, v63
	v_add_f32_e32 v25, v93, v35
	v_sub_f32_e32 v77, v55, v80
	v_add_f32_e32 v53, v16, v76
	v_sub_f32_e32 v78, v21, v74
	v_sub_f32_e32 v63, v23, v18
	v_add_f32_e32 v18, v18, v23
	v_sub_f32_e32 v16, v76, v16
	v_add_f32_e32 v21, v74, v21
	;; [unrolled: 2-line block ×3, first 2 shown]
	ds_write2_b32 v40, v11, v24 offset0:152 offset1:208
	v_add_u32_e32 v11, 0x1400, v30
	v_add_u32_e32 v76, 0x1800, v59
	;; [unrolled: 1-line block ×3, first 2 shown]
	v_add_f32_e32 v79, v64, v75
	v_sub_f32_e32 v75, v75, v64
	ds_write2_b32 v11, v29, v61 offset0:8 offset1:64
	ds_write2_b32 v11, v20, v22 offset0:120 offset1:176
	ds_write_b32 v30, v27 offset:6048
	ds_write2_b32 v76, v8, v25 offset0:32 offset1:88
	ds_write2_b32 v76, v53, v63 offset0:144 offset1:200
	ds_write2_b32 v80, v18, v16 offset1:56
	ds_write_b32 v59, v23 offset:7616
	s_waitcnt lgkmcnt(0)
	; wave barrier
	s_waitcnt lgkmcnt(0)
	ds_read2_b32 v[7:8], v1 offset1:56
	ds_read2_b32 v[17:18], v51 offset0:80 offset1:136
	ds_read2_b32 v[24:25], v47 offset0:16 offset1:72
	;; [unrolled: 1-line block ×13, first 2 shown]
	ds_read2_b32 v[35:36], v57 offset1:56
	ds_read2_b32 v[32:33], v45 offset0:160 offset1:216
	ds_read2_b32 v[37:38], v56 offset0:176 offset1:232
	ds_read_b32 v9, v1 offset:7616
	s_waitcnt lgkmcnt(0)
	; wave barrier
	s_waitcnt lgkmcnt(0)
	ds_write2_b32 v1, v86, v84 offset1:56
	ds_write2_b32 v1, v88, v90 offset0:112 offset1:168
	ds_write2_b32 v46, v6, v82 offset0:96 offset1:152
	;; [unrolled: 1-line block ×3, first 2 shown]
	ds_write_b32 v115, v39
	ds_write2_b32 v14, v85, v91 offset0:120 offset1:176
	ds_write2_b32 v45, v42, v41 offset0:104 offset1:160
	ds_write_b32 v1, v58 offset:2912
	ds_write2_b32 v34, v12, v67 offset0:16 offset1:72
	ds_write2_b32 v34, v68, v83 offset0:128 offset1:184
	ds_write2_b32 v10, v65, v66 offset0:112 offset1:168
	ds_write_b32 v15, v92 offset:4480
	ds_write2_b32 v40, v13, v71 offset0:152 offset1:208
	;; [unrolled: 4-line block ×3, first 2 shown]
	ds_write2_b32 v76, v78, v79 offset0:144 offset1:200
	ds_write2_b32 v80, v75, v21 offset1:56
	ds_write_b32 v59, v74 offset:7616
	s_waitcnt lgkmcnt(0)
	; wave barrier
	s_waitcnt lgkmcnt(0)
	s_and_saveexec_b64 s[2:3], s[0:1]
	s_cbranch_execz .LBB0_29
; %bb.28:
	v_lshlrev_b32_e32 v5, 2, v109
	v_mov_b32_e32 v6, 0
	v_lshlrev_b64 v[10:11], 3, v[5:6]
	v_mov_b32_e32 v5, s9
	v_add_co_u32_e32 v14, vcc, s8, v10
	v_addc_co_u32_e32 v15, vcc, v5, v11, vcc
	global_load_dwordx4 v[10:13], v[14:15], off offset:3104
	global_load_dwordx4 v[56:59], v[14:15], off offset:3120
	v_add_u32_e32 v60, 0x800, v1
	v_add_u32_e32 v15, 0x1000, v1
	v_lshlrev_b32_e32 v14, 2, v114
	ds_read_b32 v16, v1 offset:7616
	v_add_u32_e32 v88, 0x1400, v1
	ds_read2_b32 v[45:46], v60 offset0:160 offset1:216
	ds_read2_b32 v[30:31], v15 offset0:96 offset1:152
	;; [unrolled: 1-line block ×3, first 2 shown]
	v_mov_b32_e32 v15, v6
	v_lshlrev_b64 v[14:15], 3, v[14:15]
	v_add_u32_e32 v73, 0x400, v1
	v_add_co_u32_e32 v14, vcc, s8, v14
	v_addc_co_u32_e32 v15, vcc, v5, v15, vcc
	global_load_dwordx4 v[66:69], v[14:15], off offset:3120
	global_load_dwordx4 v[74:77], v[14:15], off offset:3104
	ds_read2_b32 v[41:42], v73 offset0:80 offset1:136
	v_lshlrev_b32_e32 v39, 2, v110
	v_lshlrev_b32_e32 v70, 2, v113
	;; [unrolled: 1-line block ×3, first 2 shown]
	v_add_u32_e32 v99, 0x1800, v1
	v_lshlrev_b32_e32 v51, 2, v111
	v_lshlrev_b32_e32 v34, 2, v0
	s_movk_i32 s0, 0x1000
	s_movk_i32 s1, 0x2000
	;; [unrolled: 1-line block ×3, first 2 shown]
	s_mov_b32 s3, 0x5397829d
	s_movk_i32 s4, 0x700
	s_waitcnt vmcnt(3) lgkmcnt(3)
	v_mul_f32_e32 v21, v10, v46
	s_waitcnt lgkmcnt(2)
	v_mul_f32_e32 v40, v12, v30
	s_waitcnt vmcnt(2)
	v_mul_f32_e32 v78, v58, v16
	s_waitcnt lgkmcnt(1)
	v_mul_f32_e32 v79, v56, v72
	v_mul_f32_e32 v14, v13, v30
	;; [unrolled: 1-line block ×5, first 2 shown]
	v_fmac_f32_e32 v21, v33, v11
	v_fmac_f32_e32 v40, v22, v13
	v_fmac_f32_e32 v79, v38, v57
	v_fma_f32 v46, v22, v12, -v14
	v_fma_f32 v38, v38, v56, -v15
	;; [unrolled: 1-line block ×4, first 2 shown]
	v_fmac_f32_e32 v78, v9, v59
	v_add_f32_e32 v11, v40, v79
	v_add_f32_e32 v14, v46, v38
	;; [unrolled: 1-line block ×3, first 2 shown]
	v_sub_f32_e32 v9, v21, v40
	v_sub_f32_e32 v12, v30, v46
	;; [unrolled: 1-line block ×5, first 2 shown]
	v_add_f32_e32 v80, v21, v78
	s_waitcnt lgkmcnt(0)
	v_fma_f32 v16, -0.5, v11, v41
	v_fma_f32 v15, -0.5, v14, v17
	;; [unrolled: 1-line block ×3, first 2 shown]
	v_add_f32_e32 v21, v21, v41
	v_add_f32_e32 v17, v17, v30
	v_sub_f32_e32 v59, v40, v79
	v_add_f32_e32 v85, v12, v13
	v_fma_f32 v12, -0.5, v80, v41
	v_add_f32_e32 v21, v40, v21
	v_add_f32_e32 v17, v17, v46
	v_mov_b32_e32 v40, v6
	v_sub_f32_e32 v10, v78, v79
	v_sub_f32_e32 v56, v46, v38
	;; [unrolled: 1-line block ×3, first 2 shown]
	v_mov_b32_e32 v14, v12
	v_add_f32_e32 v17, v17, v38
	v_lshlrev_b64 v[38:39], 3, v[39:40]
	v_sub_f32_e32 v57, v30, v33
	v_sub_f32_e32 v72, v79, v78
	v_add_f32_e32 v84, v9, v10
	v_mov_b32_e32 v10, v16
	v_mov_b32_e32 v9, v15
	v_fmac_f32_e32 v12, 0x3f737871, v56
	v_fmac_f32_e32 v14, 0xbf737871, v56
	v_add_f32_e32 v22, v22, v72
	v_mov_b32_e32 v13, v11
	v_fmac_f32_e32 v10, 0x3f737871, v57
	v_fmac_f32_e32 v9, 0xbf737871, v58
	v_fmac_f32_e32 v12, 0xbf167918, v57
	v_fmac_f32_e32 v14, 0x3f167918, v57
	v_add_f32_e32 v21, v79, v21
	v_fmac_f32_e32 v16, 0xbf737871, v57
	v_fmac_f32_e32 v15, 0x3f737871, v58
	v_add_co_u32_e32 v38, vcc, s8, v38
	v_sub_f32_e32 v81, v46, v30
	v_fmac_f32_e32 v13, 0x3f737871, v59
	v_fmac_f32_e32 v10, 0x3f167918, v56
	;; [unrolled: 1-line block ×6, first 2 shown]
	v_add_f32_e32 v22, v78, v21
	v_add_f32_e32 v21, v33, v17
	v_fmac_f32_e32 v16, 0xbf167918, v56
	v_fmac_f32_e32 v15, 0x3f167918, v59
	v_add_u32_e32 v17, 0xe00, v1
	v_add_u32_e32 v30, 0x1c00, v1
	v_addc_co_u32_e32 v39, vcc, v5, v39, vcc
	v_add_f32_e32 v72, v81, v82
	v_fmac_f32_e32 v13, 0xbf167918, v58
	v_fmac_f32_e32 v10, 0x3e9e377a, v84
	;; [unrolled: 1-line block ×6, first 2 shown]
	ds_read2_b32 v[82:83], v17 offset0:112 offset1:168
	ds_read2_b32 v[84:85], v30 offset1:56
	global_load_dwordx4 v[56:59], v[38:39], off offset:3120
	global_load_dwordx4 v[78:81], v[38:39], off offset:3104
	v_fmac_f32_e32 v13, 0x3e9e377a, v72
	v_fmac_f32_e32 v11, 0x3e9e377a, v72
	s_waitcnt vmcnt(2)
	v_mul_f32_e32 v17, v74, v45
	s_waitcnt lgkmcnt(1)
	v_mul_f32_e32 v30, v76, v83
	s_waitcnt lgkmcnt(0)
	v_mul_f32_e32 v46, v68, v85
	v_mul_f32_e32 v72, v66, v71
	v_fmac_f32_e32 v17, v32, v75
	v_fmac_f32_e32 v30, v55, v77
	v_fmac_f32_e32 v46, v36, v69
	v_fmac_f32_e32 v72, v37, v67
	v_sub_f32_e32 v33, v17, v30
	v_sub_f32_e32 v38, v46, v72
	v_add_f32_e32 v86, v33, v38
	v_mul_f32_e32 v33, v77, v83
	v_fma_f32 v55, v55, v76, -v33
	v_mul_f32_e32 v33, v67, v71
	v_fma_f32 v71, v37, v66, -v33
	;; [unrolled: 2-line block ×3, first 2 shown]
	v_add_u32_e32 v32, 0x200, v1
	ds_read2_b32 v[66:67], v32 offset0:96 offset1:152
	v_sub_f32_e32 v38, v30, v17
	v_sub_f32_e32 v39, v72, v46
	;; [unrolled: 1-line block ×3, first 2 shown]
	v_add_f32_e32 v83, v38, v39
	v_add_f32_e32 v38, v17, v46
	s_waitcnt lgkmcnt(0)
	v_add_f32_e32 v17, v17, v67
	v_add_f32_e32 v17, v30, v17
	v_mul_f32_e32 v32, v69, v85
	v_add_f32_e32 v17, v72, v17
	v_fma_f32 v68, v36, v68, -v32
	v_add_f32_e32 v32, v30, v72
	v_add_f32_e32 v46, v46, v17
	;; [unrolled: 1-line block ×3, first 2 shown]
	v_fma_f32 v37, -0.5, v32, v67
	v_sub_f32_e32 v32, v45, v55
	v_sub_f32_e32 v36, v68, v71
	v_add_f32_e32 v17, v17, v55
	v_sub_f32_e32 v76, v55, v71
	v_add_f32_e32 v74, v32, v36
	v_add_f32_e32 v32, v55, v71
	v_fma_f32 v41, -0.5, v38, v67
	v_sub_f32_e32 v38, v55, v45
	v_sub_f32_e32 v40, v71, v68
	v_add_f32_e32 v17, v17, v71
	v_mov_b32_e32 v71, v6
	v_sub_f32_e32 v69, v45, v68
	v_fma_f32 v36, -0.5, v32, v62
	v_add_f32_e32 v85, v38, v40
	v_add_f32_e32 v38, v45, v68
	;; [unrolled: 1-line block ×3, first 2 shown]
	v_lshlrev_b64 v[67:68], 3, v[70:71]
	v_mov_b32_e32 v33, v37
	v_mov_b32_e32 v32, v36
	v_fma_f32 v40, -0.5, v38, v62
	v_fmac_f32_e32 v33, 0x3f737871, v69
	v_fmac_f32_e32 v32, 0xbf737871, v75
	v_sub_f32_e32 v77, v30, v72
	v_mov_b32_e32 v39, v41
	v_mov_b32_e32 v38, v40
	v_fmac_f32_e32 v37, 0xbf737871, v69
	v_fmac_f32_e32 v36, 0x3f737871, v75
	v_add_co_u32_e32 v71, vcc, s8, v67
	v_fmac_f32_e32 v33, 0x3f167918, v76
	v_fmac_f32_e32 v32, 0xbf167918, v77
	;; [unrolled: 1-line block ×8, first 2 shown]
	v_addc_co_u32_e32 v72, vcc, v5, v68, vcc
	v_fmac_f32_e32 v33, 0x3e9e377a, v86
	v_fmac_f32_e32 v32, 0x3e9e377a, v74
	;; [unrolled: 1-line block ×8, first 2 shown]
	ds_read2_b32 v[86:87], v60 offset0:48 offset1:104
	global_load_dwordx4 v[67:70], v[71:72], off offset:3120
	global_load_dwordx4 v[74:77], v[71:72], off offset:3104
	ds_read2_b32 v[71:72], v88 offset0:64 offset1:120
	v_fmac_f32_e32 v39, 0x3e9e377a, v83
	v_fmac_f32_e32 v41, 0x3e9e377a, v83
	s_waitcnt vmcnt(2) lgkmcnt(1)
	v_mul_f32_e32 v17, v78, v87
	v_mul_f32_e32 v30, v80, v82
	;; [unrolled: 1-line block ×3, first 2 shown]
	s_waitcnt lgkmcnt(0)
	v_mul_f32_e32 v83, v56, v72
	v_fmac_f32_e32 v17, v64, v79
	v_fmac_f32_e32 v30, v54, v81
	;; [unrolled: 1-line block ×4, first 2 shown]
	v_sub_f32_e32 v55, v17, v30
	v_sub_f32_e32 v60, v62, v83
	v_fmac_f32_e32 v38, 0x3e9e377a, v85
	v_fmac_f32_e32 v40, 0x3e9e377a, v85
	v_add_f32_e32 v85, v55, v60
	v_mul_f32_e32 v55, v81, v82
	v_fma_f32 v80, v54, v80, -v55
	v_mul_f32_e32 v54, v57, v72
	v_fma_f32 v72, v53, v56, -v54
	;; [unrolled: 2-line block ×4, first 2 shown]
	v_add_f32_e32 v53, v30, v83
	v_sub_f32_e32 v57, v30, v17
	v_sub_f32_e32 v58, v83, v62
	v_fma_f32 v56, -0.5, v53, v66
	v_sub_f32_e32 v53, v64, v80
	v_sub_f32_e32 v55, v35, v72
	v_add_f32_e32 v87, v57, v58
	v_add_f32_e32 v57, v17, v62
	;; [unrolled: 1-line block ×4, first 2 shown]
	v_sub_f32_e32 v82, v17, v62
	v_fma_f32 v60, -0.5, v57, v66
	v_sub_f32_e32 v57, v80, v64
	v_sub_f32_e32 v59, v72, v35
	v_add_f32_e32 v17, v17, v66
	v_mov_b32_e32 v66, v6
	v_sub_f32_e32 v78, v64, v35
	v_fma_f32 v55, -0.5, v53, v61
	v_sub_f32_e32 v84, v30, v83
	v_add_f32_e32 v88, v57, v59
	v_add_f32_e32 v57, v64, v35
	;; [unrolled: 1-line block ×4, first 2 shown]
	v_lshlrev_b64 v[64:65], 3, v[65:66]
	v_mov_b32_e32 v54, v56
	v_mov_b32_e32 v53, v55
	v_fma_f32 v59, -0.5, v57, v61
	v_sub_f32_e32 v81, v80, v72
	v_fmac_f32_e32 v54, 0x3f737871, v78
	v_fmac_f32_e32 v53, 0xbf737871, v82
	v_mov_b32_e32 v58, v60
	v_mov_b32_e32 v57, v59
	v_fmac_f32_e32 v56, 0xbf737871, v78
	v_fmac_f32_e32 v55, 0x3f737871, v82
	v_add_f32_e32 v17, v83, v17
	v_add_co_u32_e32 v64, vcc, s8, v64
	v_fmac_f32_e32 v54, 0x3f167918, v81
	v_fmac_f32_e32 v53, 0xbf167918, v84
	v_fmac_f32_e32 v58, 0xbf737871, v81
	v_fmac_f32_e32 v57, 0x3f737871, v84
	v_fmac_f32_e32 v60, 0x3f737871, v81
	v_fmac_f32_e32 v59, 0xbf737871, v84
	v_fmac_f32_e32 v56, 0xbf167918, v81
	v_fmac_f32_e32 v55, 0x3f167918, v84
	v_add_f32_e32 v62, v62, v17
	v_add_u32_e32 v17, 0xc00, v1
	v_addc_co_u32_e32 v65, vcc, v5, v65, vcc
	v_fmac_f32_e32 v54, 0x3e9e377a, v85
	v_fmac_f32_e32 v53, 0x3e9e377a, v79
	;; [unrolled: 1-line block ×8, first 2 shown]
	ds_read2_b32 v[90:91], v17 offset0:128 offset1:184
	v_add_f32_e32 v30, v30, v80
	global_load_dwordx4 v[78:81], v[64:65], off offset:3120
	global_load_dwordx4 v[82:85], v[64:65], off offset:3104
	ds_read2_b32 v[92:93], v99 offset0:144 offset1:200
	v_add_f32_e32 v30, v30, v72
	v_fmac_f32_e32 v58, 0x3e9e377a, v87
	v_fmac_f32_e32 v60, 0x3e9e377a, v87
	v_add_f32_e32 v61, v35, v30
	s_waitcnt vmcnt(2) lgkmcnt(1)
	v_mul_f32_e32 v30, v76, v91
	v_mul_f32_e32 v35, v74, v86
	;; [unrolled: 1-line block ×3, first 2 shown]
	s_waitcnt lgkmcnt(0)
	v_mul_f32_e32 v87, v69, v93
	v_fmac_f32_e32 v30, v50, v77
	v_fmac_f32_e32 v35, v63, v75
	;; [unrolled: 1-line block ×4, first 2 shown]
	ds_read2_b32 v[94:95], v1 offset0:112 offset1:168
	v_sub_f32_e32 v64, v30, v35
	v_sub_f32_e32 v65, v72, v87
	v_fmac_f32_e32 v57, 0x3e9e377a, v88
	v_fmac_f32_e32 v59, 0x3e9e377a, v88
	v_add_f32_e32 v88, v64, v65
	v_mul_f32_e32 v64, v75, v86
	v_fma_f32 v74, v63, v74, -v64
	v_mul_f32_e32 v63, v70, v93
	v_fma_f32 v48, v48, v69, -v63
	v_add_f32_e32 v63, v35, v87
	s_waitcnt lgkmcnt(0)
	v_fma_f32 v66, -0.5, v63, v95
	v_mul_f32_e32 v63, v77, v91
	v_fma_f32 v50, v50, v76, -v63
	v_mul_f32_e32 v63, v68, v71
	v_fma_f32 v52, v52, v67, -v63
	v_sub_f32_e32 v63, v50, v74
	v_sub_f32_e32 v65, v52, v48
	v_add_f32_e32 v67, v63, v65
	v_add_f32_e32 v63, v74, v48
	v_fma_f32 v65, -0.5, v63, v44
	v_sub_f32_e32 v77, v30, v72
	v_mov_b32_e32 v63, v65
	v_sub_f32_e32 v76, v50, v52
	v_mov_b32_e32 v64, v66
	v_fmac_f32_e32 v63, 0x3f737871, v77
	v_sub_f32_e32 v86, v35, v87
	v_fmac_f32_e32 v65, 0xbf737871, v77
	v_sub_f32_e32 v75, v74, v48
	v_fmac_f32_e32 v64, 0xbf737871, v76
	v_fmac_f32_e32 v63, 0xbf167918, v86
	;; [unrolled: 1-line block ×8, first 2 shown]
	v_sub_f32_e32 v67, v35, v30
	v_sub_f32_e32 v68, v87, v72
	v_add_f32_e32 v35, v35, v95
	v_fmac_f32_e32 v64, 0x3e9e377a, v88
	v_fmac_f32_e32 v66, 0x3e9e377a, v88
	v_add_f32_e32 v88, v67, v68
	v_add_f32_e32 v67, v30, v72
	;; [unrolled: 1-line block ×6, first 2 shown]
	v_fma_f32 v68, -0.5, v67, v95
	v_sub_f32_e32 v67, v74, v50
	v_sub_f32_e32 v69, v48, v52
	v_add_f32_e32 v30, v50, v30
	v_add_f32_e32 v89, v67, v69
	;; [unrolled: 1-line block ×4, first 2 shown]
	v_add_u32_e32 v50, 0x1200, v1
	v_mov_b32_e32 v52, v6
	v_fma_f32 v67, -0.5, v67, v44
	ds_read2_b32 v[97:98], v50 offset0:80 offset1:136
	v_lshlrev_b64 v[50:51], 3, v[51:52]
	v_mov_b32_e32 v70, v68
	v_mov_b32_e32 v69, v67
	ds_read2_b32 v[95:96], v73 offset0:192 offset1:248
	v_fmac_f32_e32 v70, 0xbf737871, v75
	v_fmac_f32_e32 v69, 0x3f737871, v86
	;; [unrolled: 1-line block ×4, first 2 shown]
	v_add_co_u32_e32 v50, vcc, s8, v50
	v_fmac_f32_e32 v70, 0xbf167918, v76
	v_fmac_f32_e32 v69, 0x3f167918, v77
	;; [unrolled: 1-line block ×4, first 2 shown]
	v_addc_co_u32_e32 v51, vcc, v5, v51, vcc
	v_fmac_f32_e32 v70, 0x3e9e377a, v88
	v_fmac_f32_e32 v69, 0x3e9e377a, v89
	;; [unrolled: 1-line block ×4, first 2 shown]
	global_load_dwordx4 v[73:76], v[50:51], off offset:3120
	global_load_dwordx4 v[86:89], v[50:51], off offset:3104
	v_add_f32_e32 v71, v30, v48
	s_waitcnt vmcnt(2) lgkmcnt(0)
	v_mul_f32_e32 v35, v82, v96
	v_mul_f32_e32 v44, v84, v90
	;; [unrolled: 1-line block ×4, first 2 shown]
	v_fmac_f32_e32 v35, v27, v83
	v_fmac_f32_e32 v44, v49, v85
	;; [unrolled: 1-line block ×4, first 2 shown]
	v_sub_f32_e32 v30, v35, v44
	v_sub_f32_e32 v51, v48, v50
	v_add_f32_e32 v77, v30, v51
	v_mul_f32_e32 v30, v85, v90
	v_fma_f32 v49, v49, v84, -v30
	v_mul_f32_e32 v30, v79, v98
	v_fma_f32 v78, v29, v78, -v30
	;; [unrolled: 2-line block ×3, first 2 shown]
	v_mul_f32_e32 v29, v81, v92
	v_sub_f32_e32 v81, v44, v35
	v_sub_f32_e32 v82, v50, v48
	v_sub_f32_e32 v90, v35, v48
	v_add_f32_e32 v92, v81, v82
	v_add_f32_e32 v81, v35, v48
	;; [unrolled: 1-line block ×3, first 2 shown]
	v_fma_f32 v85, v47, v80, -v29
	v_add_f32_e32 v29, v44, v50
	v_add_f32_e32 v35, v44, v35
	v_fma_f32 v30, -0.5, v29, v94
	v_sub_f32_e32 v29, v27, v49
	v_sub_f32_e32 v51, v85, v78
	v_add_f32_e32 v35, v50, v35
	v_add_f32_e32 v80, v29, v51
	v_add_f32_e32 v29, v49, v78
	v_sub_f32_e32 v91, v44, v50
	v_fma_f32 v82, -0.5, v81, v94
	v_sub_f32_e32 v81, v49, v27
	v_sub_f32_e32 v83, v78, v85
	v_add_f32_e32 v44, v48, v35
	v_mov_b32_e32 v35, v6
	v_fma_f32 v29, -0.5, v29, v43
	v_add_f32_e32 v93, v81, v83
	v_add_f32_e32 v81, v27, v85
	v_lshlrev_b64 v[34:35], 3, v[34:35]
	v_sub_f32_e32 v47, v27, v85
	v_mov_b32_e32 v52, v30
	v_mov_b32_e32 v51, v29
	v_fma_f32 v81, -0.5, v81, v43
	v_sub_f32_e32 v79, v49, v78
	v_fmac_f32_e32 v52, 0x3f737871, v47
	v_fmac_f32_e32 v51, 0xbf737871, v90
	v_mov_b32_e32 v84, v82
	v_mov_b32_e32 v83, v81
	v_fmac_f32_e32 v30, 0xbf737871, v47
	v_fmac_f32_e32 v29, 0x3f737871, v90
	v_add_f32_e32 v27, v43, v27
	v_add_co_u32_e32 v34, vcc, s8, v34
	v_fmac_f32_e32 v52, 0x3f167918, v79
	v_fmac_f32_e32 v51, 0xbf167918, v91
	;; [unrolled: 1-line block ×8, first 2 shown]
	v_add_f32_e32 v27, v27, v49
	v_addc_co_u32_e32 v35, vcc, v5, v35, vcc
	v_fmac_f32_e32 v52, 0x3e9e377a, v77
	v_fmac_f32_e32 v51, 0x3e9e377a, v80
	;; [unrolled: 1-line block ×8, first 2 shown]
	v_add_f32_e32 v27, v27, v78
	ds_read2_b32 v[90:91], v17 offset0:16 offset1:72
	global_load_dwordx4 v[47:50], v[34:35], off offset:3120
	global_load_dwordx4 v[77:80], v[34:35], off offset:3104
	ds_read2_b32 v[34:35], v99 offset0:32 offset1:88
	v_fmac_f32_e32 v84, 0x3e9e377a, v92
	v_fmac_f32_e32 v83, 0x3e9e377a, v93
	;; [unrolled: 1-line block ×4, first 2 shown]
	s_waitcnt vmcnt(2)
	v_mul_f32_e32 v5, v86, v95
	s_waitcnt lgkmcnt(1)
	v_mul_f32_e32 v17, v88, v91
	s_waitcnt lgkmcnt(0)
	v_mul_f32_e32 v92, v75, v35
	v_mul_f32_e32 v93, v73, v97
	v_fmac_f32_e32 v5, v26, v87
	v_fmac_f32_e32 v17, v25, v89
	;; [unrolled: 1-line block ×4, first 2 shown]
	v_add_f32_e32 v43, v85, v27
	v_sub_f32_e32 v27, v5, v17
	v_sub_f32_e32 v85, v92, v93
	v_add_f32_e32 v94, v27, v85
	v_mul_f32_e32 v27, v89, v91
	v_fma_f32 v89, v25, v88, -v27
	v_mul_f32_e32 v25, v74, v97
	v_fma_f32 v91, v28, v73, -v25
	;; [unrolled: 2-line block ×3, first 2 shown]
	ds_read2_b32 v[25:26], v1 offset1:56
	v_mul_f32_e32 v1, v76, v35
	v_fma_f32 v1, v20, v75, -v1
	v_add_f32_e32 v27, v17, v93
	v_sub_f32_e32 v75, v17, v5
	v_sub_f32_e32 v76, v93, v92
	s_waitcnt lgkmcnt(0)
	v_fma_f32 v28, -0.5, v27, v26
	v_sub_f32_e32 v95, v5, v92
	v_add_f32_e32 v97, v75, v76
	v_add_f32_e32 v75, v5, v92
	;; [unrolled: 1-line block ×3, first 2 shown]
	v_sub_f32_e32 v20, v87, v1
	v_mov_b32_e32 v74, v28
	v_fma_f32 v76, -0.5, v75, v26
	v_add_f32_e32 v5, v17, v5
	v_sub_f32_e32 v88, v89, v91
	v_fmac_f32_e32 v74, 0x3f737871, v20
	v_mov_b32_e32 v86, v76
	v_fmac_f32_e32 v28, 0xbf737871, v20
	v_add_f32_e32 v5, v93, v5
	v_fmac_f32_e32 v74, 0x3f167918, v88
	v_fmac_f32_e32 v86, 0xbf737871, v88
	;; [unrolled: 1-line block ×4, first 2 shown]
	v_add_f32_e32 v88, v92, v5
	v_add_f32_e32 v5, v8, v87
	;; [unrolled: 1-line block ×3, first 2 shown]
	v_sub_f32_e32 v27, v87, v89
	v_sub_f32_e32 v35, v1, v91
	;; [unrolled: 1-line block ×4, first 2 shown]
	v_add_f32_e32 v5, v5, v91
	v_add_f32_e32 v35, v27, v35
	;; [unrolled: 1-line block ×6, first 2 shown]
	v_fma_f32 v27, -0.5, v27, v8
	v_sub_f32_e32 v96, v17, v93
	v_fma_f32 v75, -0.5, v75, v8
	v_fmac_f32_e32 v86, 0x3f167918, v20
	v_fmac_f32_e32 v76, 0xbf167918, v20
	v_mov_b32_e32 v73, v27
	v_fmac_f32_e32 v73, 0xbf737871, v95
	v_fmac_f32_e32 v27, 0x3f737871, v95
	;; [unrolled: 1-line block ×6, first 2 shown]
	v_mov_b32_e32 v85, v75
	v_fmac_f32_e32 v85, 0x3f737871, v96
	v_fmac_f32_e32 v75, 0xbf737871, v96
	;; [unrolled: 1-line block ×5, first 2 shown]
	s_waitcnt vmcnt(1)
	v_mul_f32_e32 v26, v49, v34
	s_waitcnt vmcnt(0)
	v_mul_f32_e32 v1, v77, v42
	v_mul_f32_e32 v5, v79, v90
	;; [unrolled: 1-line block ×3, first 2 shown]
	v_fmac_f32_e32 v1, v18, v78
	v_fmac_f32_e32 v5, v24, v80
	;; [unrolled: 1-line block ×4, first 2 shown]
	v_sub_f32_e32 v8, v1, v5
	v_sub_f32_e32 v17, v26, v89
	v_add_f32_e32 v8, v8, v17
	v_mul_f32_e32 v17, v80, v90
	v_fma_f32 v79, v24, v79, -v17
	v_mul_f32_e32 v17, v48, v31
	v_fma_f32 v31, v23, v47, -v17
	;; [unrolled: 2-line block ×4, first 2 shown]
	v_add_f32_e32 v17, v5, v89
	v_fma_f32 v18, -0.5, v17, v25
	v_sub_f32_e32 v23, v5, v1
	v_sub_f32_e32 v24, v89, v26
	;; [unrolled: 1-line block ×3, first 2 shown]
	v_mov_b32_e32 v20, v18
	v_sub_f32_e32 v77, v1, v26
	v_add_f32_e32 v80, v23, v24
	v_add_f32_e32 v23, v1, v26
	v_add_f32_e32 v1, v1, v25
	v_sub_f32_e32 v47, v79, v31
	v_fmac_f32_e32 v20, 0x3f737871, v49
	v_fmac_f32_e32 v18, 0xbf737871, v49
	v_add_f32_e32 v1, v5, v1
	v_fmac_f32_e32 v20, 0x3f167918, v47
	v_fmac_f32_e32 v18, 0xbf167918, v47
	v_add_f32_e32 v1, v89, v1
	;; [unrolled: 3-line block ×3, first 2 shown]
	v_add_f32_e32 v1, v7, v42
	v_sub_f32_e32 v17, v42, v79
	v_sub_f32_e32 v19, v48, v31
	v_fma_f32 v24, -0.5, v23, v25
	v_sub_f32_e32 v23, v79, v42
	v_sub_f32_e32 v34, v31, v48
	v_add_f32_e32 v1, v1, v79
	v_add_f32_e32 v50, v17, v19
	;; [unrolled: 1-line block ×6, first 2 shown]
	v_fma_f32 v17, -0.5, v17, v7
	v_fma_f32 v23, -0.5, v23, v7
	v_add_f32_e32 v7, v48, v1
	v_mov_b32_e32 v1, v6
	v_sub_f32_e32 v78, v5, v89
	v_mov_b32_e32 v5, s13
	v_add_co_u32_e32 v25, vcc, s12, v2
	v_lshlrev_b64 v[1:2], 3, v[0:1]
	v_addc_co_u32_e32 v26, vcc, v5, v3, vcc
	v_mov_b32_e32 v19, v17
	v_fmac_f32_e32 v17, 0x3f737871, v77
	v_add_co_u32_e32 v1, vcc, v25, v1
	v_fmac_f32_e32 v17, 0x3f167918, v78
	v_addc_co_u32_e32 v2, vcc, v26, v2, vcc
	v_fmac_f32_e32 v17, 0x3e9e377a, v50
	global_store_dwordx2 v[1:2], v[7:8], off
	global_store_dwordx2 v[1:2], v[17:18], off offset:3136
	v_add_co_u32_e32 v7, vcc, s0, v1
	v_mov_b32_e32 v35, v24
	v_mov_b32_e32 v34, v23
	v_fmac_f32_e32 v24, 0xbf737871, v47
	v_fmac_f32_e32 v23, 0x3f737871, v78
	v_addc_co_u32_e32 v8, vcc, 0, v2, vcc
	v_fmac_f32_e32 v24, 0x3f167918, v49
	v_fmac_f32_e32 v23, 0xbf167918, v77
	v_add_co_u32_e32 v17, vcc, s1, v1
	v_fmac_f32_e32 v24, 0x3e9e377a, v80
	v_fmac_f32_e32 v23, 0x3e9e377a, v90
	v_addc_co_u32_e32 v18, vcc, 0, v2, vcc
	v_mov_b32_e32 v5, v6
	global_store_dwordx2 v[17:18], v[23:24], off offset:1216
	v_add_co_u32_e32 v23, vcc, s2, v1
	v_lshlrev_b64 v[3:4], 3, v[4:5]
	v_fmac_f32_e32 v19, 0xbf737871, v77
	v_fmac_f32_e32 v35, 0x3f737871, v47
	;; [unrolled: 1-line block ×3, first 2 shown]
	v_addc_co_u32_e32 v24, vcc, 0, v2, vcc
	v_fmac_f32_e32 v19, 0xbf167918, v78
	v_fmac_f32_e32 v35, 0xbf167918, v49
	;; [unrolled: 1-line block ×3, first 2 shown]
	v_add_co_u32_e32 v3, vcc, v25, v3
	v_or_b32_e32 v5, 0x540, v0
	v_mul_hi_u32 v0, v110, s3
	v_fmac_f32_e32 v19, 0x3e9e377a, v50
	v_fmac_f32_e32 v35, 0x3e9e377a, v80
	v_fmac_f32_e32 v34, 0x3e9e377a, v90
	v_addc_co_u32_e32 v4, vcc, v26, v4, vcc
	v_fmac_f32_e32 v86, 0x3e9e377a, v97
	v_fmac_f32_e32 v85, 0x3e9e377a, v98
	;; [unrolled: 1-line block ×5, first 2 shown]
	global_store_dwordx2 v[7:8], v[34:35], off offset:2176
	global_store_dwordx2 v[23:24], v[19:20], off offset:256
	;; [unrolled: 1-line block ×9, first 2 shown]
	global_store_dwordx2 v[3:4], v[81:82], off
	global_store_dwordx2 v[17:18], v[83:84], off offset:2112
	global_store_dwordx2 v[23:24], v[51:52], off offset:1152
	;; [unrolled: 1-line block ×5, first 2 shown]
	v_lshlrev_b64 v[3:4], 3, v[5:6]
	v_lshrrev_b32_e32 v0, 7, v0
	v_add_co_u32_e32 v3, vcc, v25, v3
	v_addc_co_u32_e32 v4, vcc, v26, v4, vcc
	v_mul_u32_u24_e32 v5, 0x620, v0
	global_store_dwordx2 v[3:4], v[63:64], off
	global_store_dwordx2 v[23:24], v[67:68], off offset:1600
	v_lshlrev_b64 v[3:4], 3, v[5:6]
	v_mul_hi_u32 v0, v109, s3
	v_add_co_u32_e32 v3, vcc, v1, v3
	v_addc_co_u32_e32 v4, vcc, v2, v4, vcc
	v_add_co_u32_e32 v19, vcc, s4, v3
	v_addc_co_u32_e32 v20, vcc, 0, v4, vcc
	global_store_dwordx2 v[3:4], v[61:62], off offset:1792
	global_store_dwordx2 v[19:20], v[55:56], off offset:3136
	v_add_co_u32_e32 v19, vcc, s0, v3
	v_addc_co_u32_e32 v20, vcc, 0, v4, vcc
	global_store_dwordx2 v[19:20], v[59:60], off offset:3968
	v_add_co_u32_e32 v19, vcc, s1, v3
	v_addc_co_u32_e32 v20, vcc, 0, v4, vcc
	v_add_co_u32_e32 v3, vcc, s2, v3
	v_lshrrev_b32_e32 v0, 7, v0
	v_addc_co_u32_e32 v4, vcc, 0, v4, vcc
	v_mul_u32_u24_e32 v5, 0x620, v0
	global_store_dwordx2 v[19:20], v[57:58], off offset:3008
	global_store_dwordx2 v[3:4], v[53:54], off offset:2048
	;; [unrolled: 1-line block ×4, first 2 shown]
	v_lshlrev_b64 v[3:4], 3, v[5:6]
	global_store_dwordx2 v[17:18], v[40:41], off offset:320
	global_store_dwordx2 v[17:18], v[38:39], off offset:3456
	;; [unrolled: 1-line block ×3, first 2 shown]
	v_add_co_u32_e32 v0, vcc, v1, v3
	v_addc_co_u32_e32 v1, vcc, v2, v4, vcc
	v_add_co_u32_e32 v2, vcc, 0xa80, v0
	v_addc_co_u32_e32 v3, vcc, 0, v1, vcc
	global_store_dwordx2 v[0:1], v[21:22], off offset:2688
	global_store_dwordx2 v[2:3], v[15:16], off offset:3136
	v_add_co_u32_e32 v2, vcc, 0x2000, v0
	v_addc_co_u32_e32 v3, vcc, 0, v1, vcc
	v_add_co_u32_e32 v0, vcc, 0x3000, v0
	v_addc_co_u32_e32 v1, vcc, 0, v1, vcc
	global_store_dwordx2 v[2:3], v[11:12], off offset:768
	global_store_dwordx2 v[2:3], v[13:14], off offset:3904
	;; [unrolled: 1-line block ×3, first 2 shown]
.LBB0_29:
	s_endpgm
	.section	.rodata,"a",@progbits
	.p2align	6, 0x0
	.amdhsa_kernel fft_rtc_fwd_len1960_factors_4_7_2_7_5_wgs_56_tpt_56_halfLds_sp_ip_CI_unitstride_sbrr_dirReg
		.amdhsa_group_segment_fixed_size 0
		.amdhsa_private_segment_fixed_size 0
		.amdhsa_kernarg_size 88
		.amdhsa_user_sgpr_count 6
		.amdhsa_user_sgpr_private_segment_buffer 1
		.amdhsa_user_sgpr_dispatch_ptr 0
		.amdhsa_user_sgpr_queue_ptr 0
		.amdhsa_user_sgpr_kernarg_segment_ptr 1
		.amdhsa_user_sgpr_dispatch_id 0
		.amdhsa_user_sgpr_flat_scratch_init 0
		.amdhsa_user_sgpr_private_segment_size 0
		.amdhsa_uses_dynamic_stack 0
		.amdhsa_system_sgpr_private_segment_wavefront_offset 0
		.amdhsa_system_sgpr_workgroup_id_x 1
		.amdhsa_system_sgpr_workgroup_id_y 0
		.amdhsa_system_sgpr_workgroup_id_z 0
		.amdhsa_system_sgpr_workgroup_info 0
		.amdhsa_system_vgpr_workitem_id 0
		.amdhsa_next_free_vgpr 156
		.amdhsa_next_free_sgpr 22
		.amdhsa_reserve_vcc 1
		.amdhsa_reserve_flat_scratch 0
		.amdhsa_float_round_mode_32 0
		.amdhsa_float_round_mode_16_64 0
		.amdhsa_float_denorm_mode_32 3
		.amdhsa_float_denorm_mode_16_64 3
		.amdhsa_dx10_clamp 1
		.amdhsa_ieee_mode 1
		.amdhsa_fp16_overflow 0
		.amdhsa_exception_fp_ieee_invalid_op 0
		.amdhsa_exception_fp_denorm_src 0
		.amdhsa_exception_fp_ieee_div_zero 0
		.amdhsa_exception_fp_ieee_overflow 0
		.amdhsa_exception_fp_ieee_underflow 0
		.amdhsa_exception_fp_ieee_inexact 0
		.amdhsa_exception_int_div_zero 0
	.end_amdhsa_kernel
	.text
.Lfunc_end0:
	.size	fft_rtc_fwd_len1960_factors_4_7_2_7_5_wgs_56_tpt_56_halfLds_sp_ip_CI_unitstride_sbrr_dirReg, .Lfunc_end0-fft_rtc_fwd_len1960_factors_4_7_2_7_5_wgs_56_tpt_56_halfLds_sp_ip_CI_unitstride_sbrr_dirReg
                                        ; -- End function
	.section	.AMDGPU.csdata,"",@progbits
; Kernel info:
; codeLenInByte = 17548
; NumSgprs: 26
; NumVgprs: 156
; ScratchSize: 0
; MemoryBound: 0
; FloatMode: 240
; IeeeMode: 1
; LDSByteSize: 0 bytes/workgroup (compile time only)
; SGPRBlocks: 3
; VGPRBlocks: 38
; NumSGPRsForWavesPerEU: 26
; NumVGPRsForWavesPerEU: 156
; Occupancy: 1
; WaveLimiterHint : 1
; COMPUTE_PGM_RSRC2:SCRATCH_EN: 0
; COMPUTE_PGM_RSRC2:USER_SGPR: 6
; COMPUTE_PGM_RSRC2:TRAP_HANDLER: 0
; COMPUTE_PGM_RSRC2:TGID_X_EN: 1
; COMPUTE_PGM_RSRC2:TGID_Y_EN: 0
; COMPUTE_PGM_RSRC2:TGID_Z_EN: 0
; COMPUTE_PGM_RSRC2:TIDIG_COMP_CNT: 0
	.type	__hip_cuid_9b339c3eba4e72e3,@object ; @__hip_cuid_9b339c3eba4e72e3
	.section	.bss,"aw",@nobits
	.globl	__hip_cuid_9b339c3eba4e72e3
__hip_cuid_9b339c3eba4e72e3:
	.byte	0                               ; 0x0
	.size	__hip_cuid_9b339c3eba4e72e3, 1

	.ident	"AMD clang version 19.0.0git (https://github.com/RadeonOpenCompute/llvm-project roc-6.4.0 25133 c7fe45cf4b819c5991fe208aaa96edf142730f1d)"
	.section	".note.GNU-stack","",@progbits
	.addrsig
	.addrsig_sym __hip_cuid_9b339c3eba4e72e3
	.amdgpu_metadata
---
amdhsa.kernels:
  - .args:
      - .actual_access:  read_only
        .address_space:  global
        .offset:         0
        .size:           8
        .value_kind:     global_buffer
      - .offset:         8
        .size:           8
        .value_kind:     by_value
      - .actual_access:  read_only
        .address_space:  global
        .offset:         16
        .size:           8
        .value_kind:     global_buffer
      - .actual_access:  read_only
        .address_space:  global
        .offset:         24
        .size:           8
        .value_kind:     global_buffer
      - .offset:         32
        .size:           8
        .value_kind:     by_value
      - .actual_access:  read_only
        .address_space:  global
        .offset:         40
        .size:           8
        .value_kind:     global_buffer
      - .actual_access:  read_only
        .address_space:  global
        .offset:         48
        .size:           8
        .value_kind:     global_buffer
      - .offset:         56
        .size:           4
        .value_kind:     by_value
      - .actual_access:  read_only
        .address_space:  global
        .offset:         64
        .size:           8
        .value_kind:     global_buffer
      - .actual_access:  read_only
        .address_space:  global
        .offset:         72
        .size:           8
        .value_kind:     global_buffer
      - .address_space:  global
        .offset:         80
        .size:           8
        .value_kind:     global_buffer
    .group_segment_fixed_size: 0
    .kernarg_segment_align: 8
    .kernarg_segment_size: 88
    .language:       OpenCL C
    .language_version:
      - 2
      - 0
    .max_flat_workgroup_size: 56
    .name:           fft_rtc_fwd_len1960_factors_4_7_2_7_5_wgs_56_tpt_56_halfLds_sp_ip_CI_unitstride_sbrr_dirReg
    .private_segment_fixed_size: 0
    .sgpr_count:     26
    .sgpr_spill_count: 0
    .symbol:         fft_rtc_fwd_len1960_factors_4_7_2_7_5_wgs_56_tpt_56_halfLds_sp_ip_CI_unitstride_sbrr_dirReg.kd
    .uniform_work_group_size: 1
    .uses_dynamic_stack: false
    .vgpr_count:     156
    .vgpr_spill_count: 0
    .wavefront_size: 64
amdhsa.target:   amdgcn-amd-amdhsa--gfx906
amdhsa.version:
  - 1
  - 2
...

	.end_amdgpu_metadata
